;; amdgpu-corpus repo=ROCm/rocFFT kind=compiled arch=gfx1030 opt=O3
	.text
	.amdgcn_target "amdgcn-amd-amdhsa--gfx1030"
	.amdhsa_code_object_version 6
	.protected	bluestein_single_back_len990_dim1_half_op_CI_CI ; -- Begin function bluestein_single_back_len990_dim1_half_op_CI_CI
	.globl	bluestein_single_back_len990_dim1_half_op_CI_CI
	.p2align	8
	.type	bluestein_single_back_len990_dim1_half_op_CI_CI,@function
bluestein_single_back_len990_dim1_half_op_CI_CI: ; @bluestein_single_back_len990_dim1_half_op_CI_CI
; %bb.0:
	s_load_dwordx4 s[8:11], s[4:5], 0x28
	v_mul_u32_u24_e32 v1, 0x254, v0
	v_mov_b32_e32 v21, 0
	s_mov_b32 s0, exec_lo
	v_lshrrev_b32_e32 v1, 16, v1
	v_add_nc_u32_e32 v20, s6, v1
	s_waitcnt lgkmcnt(0)
	v_cmpx_gt_u64_e64 s[8:9], v[20:21]
	s_cbranch_execz .LBB0_31
; %bb.1:
	s_load_dwordx4 s[0:3], s[4:5], 0x18
	v_mul_lo_u16 v1, 0x6e, v1
	v_sub_nc_u16 v7, v0, v1
	v_and_b32_e32 v49, 0xffff, v7
	v_lshlrev_b32_e32 v43, 2, v49
	s_waitcnt lgkmcnt(0)
	s_load_dwordx4 s[12:15], s[0:1], 0x0
	s_load_dwordx2 s[0:1], s[4:5], 0x0
	s_waitcnt lgkmcnt(0)
	v_mad_u64_u32 v[0:1], null, s14, v20, 0
	v_mad_u64_u32 v[2:3], null, s12, v49, 0
	v_add_co_u32 v16, s6, s0, v43
	s_mul_i32 s7, s13, 0x1ef
	s_mul_hi_u32 s9, s12, 0x1ef
	v_add_co_ci_u32_e64 v17, null, s1, 0, s6
	v_mad_u64_u32 v[4:5], null, s15, v20, v[1:2]
	s_mul_i32 s6, s12, 0x1ef
	s_mul_i32 s14, s13, 0xfffffe7f
	s_add_i32 s7, s9, s7
	s_mul_i32 s8, s12, 0xfffffe7f
	s_clause 0x3
	global_load_dword v51, v43, s[0:1] offset:1980
	global_load_dword v52, v43, s[0:1]
	global_load_dword v50, v43, s[0:1] offset:440
	global_load_dword v47, v43, s[0:1] offset:880
	v_mad_u64_u32 v[5:6], null, s13, v49, v[3:4]
	v_mov_b32_e32 v1, v4
	s_mul_hi_u32 s13, s12, 0xfffffe7f
	s_sub_i32 s9, s13, s12
	s_lshl_b64 s[12:13], s[6:7], 2
	v_lshlrev_b64 v[0:1], 2, v[0:1]
	v_mov_b32_e32 v3, v5
	s_add_i32 s9, s9, s14
	s_load_dwordx2 s[6:7], s[4:5], 0x38
	s_lshl_b64 s[14:15], s[8:9], 2
	v_lshlrev_b64 v[2:3], 2, v[2:3]
	v_add_co_u32 v0, vcc_lo, s10, v0
	v_add_co_ci_u32_e32 v1, vcc_lo, s11, v1, vcc_lo
	v_add_co_u32 v0, vcc_lo, v0, v2
	v_add_co_ci_u32_e32 v1, vcc_lo, v1, v3, vcc_lo
	;; [unrolled: 2-line block ×3, first 2 shown]
	s_clause 0x1
	global_load_dword v4, v[0:1], off
	global_load_dword v5, v[2:3], off
	v_add_co_u32 v0, vcc_lo, v2, s14
	v_add_co_ci_u32_e32 v1, vcc_lo, s15, v3, vcc_lo
	v_add_co_u32 v18, vcc_lo, 0x800, v16
	v_add_co_ci_u32_e32 v19, vcc_lo, 0, v17, vcc_lo
	global_load_dword v6, v[0:1], off
	v_add_co_u32 v0, vcc_lo, v0, s12
	v_add_co_ci_u32_e32 v1, vcc_lo, s13, v1, vcc_lo
	global_load_dword v48, v[18:19], off offset:372
	v_add_co_u32 v2, vcc_lo, v0, s14
	v_add_co_ci_u32_e32 v3, vcc_lo, s15, v1, vcc_lo
	s_clause 0x1
	global_load_dword v8, v[0:1], off
	global_load_dword v9, v[2:3], off
	v_add_co_u32 v0, vcc_lo, v2, s12
	v_add_co_ci_u32_e32 v1, vcc_lo, s13, v3, vcc_lo
	v_add_co_u32 v2, vcc_lo, v0, s14
	v_add_co_ci_u32_e32 v3, vcc_lo, s15, v1, vcc_lo
	global_load_dword v10, v[0:1], off
	v_add_co_u32 v0, vcc_lo, v2, s12
	v_add_co_ci_u32_e32 v1, vcc_lo, s13, v3, vcc_lo
	global_load_dword v46, v[18:19], off offset:812
	global_load_dword v2, v[2:3], off
	global_load_dword v3, v[0:1], off
	s_clause 0x1
	global_load_dword v45, v43, s[0:1] offset:1320
	global_load_dword v44, v[18:19], off offset:1252
	s_load_dwordx4 s[8:11], s[2:3], 0x0
	v_cmp_gt_u16_e32 vcc_lo, 55, v7
	s_waitcnt vmcnt(11)
	v_lshrrev_b32_e32 v11, 16, v4
	v_mul_f16_sdwa v12, v52, v4 dst_sel:DWORD dst_unused:UNUSED_PAD src0_sel:WORD_1 src1_sel:DWORD
	s_waitcnt vmcnt(10)
	v_lshrrev_b32_e32 v14, 16, v5
	v_mul_f16_sdwa v15, v51, v5 dst_sel:DWORD dst_unused:UNUSED_PAD src0_sel:WORD_1 src1_sel:DWORD
	v_mul_f16_sdwa v13, v52, v11 dst_sel:DWORD dst_unused:UNUSED_PAD src0_sel:WORD_1 src1_sel:DWORD
	v_fma_f16 v11, v52, v11, -v12
	s_waitcnt vmcnt(9)
	v_lshrrev_b32_e32 v12, 16, v6
	v_fmac_f16_e32 v13, v52, v4
	v_mul_f16_sdwa v4, v51, v14 dst_sel:DWORD dst_unused:UNUSED_PAD src0_sel:WORD_1 src1_sel:DWORD
	v_fma_f16 v14, v51, v14, -v15
	v_mul_f16_sdwa v15, v50, v6 dst_sel:DWORD dst_unused:UNUSED_PAD src0_sel:WORD_1 src1_sel:DWORD
	v_pack_b32_f16 v11, v13, v11
	v_fmac_f16_e32 v4, v51, v5
	v_mul_f16_sdwa v5, v50, v12 dst_sel:DWORD dst_unused:UNUSED_PAD src0_sel:WORD_1 src1_sel:DWORD
	v_fma_f16 v12, v50, v12, -v15
	s_waitcnt vmcnt(7)
	v_lshrrev_b32_e32 v13, 16, v8
	v_mul_f16_sdwa v21, v48, v8 dst_sel:DWORD dst_unused:UNUSED_PAD src0_sel:WORD_1 src1_sel:DWORD
	v_pack_b32_f16 v4, v4, v14
	v_fmac_f16_e32 v5, v50, v6
	s_waitcnt vmcnt(6)
	v_lshrrev_b32_e32 v14, 16, v9
	v_mul_f16_sdwa v6, v48, v13 dst_sel:DWORD dst_unused:UNUSED_PAD src0_sel:WORD_1 src1_sel:DWORD
	v_mul_f16_sdwa v15, v47, v9 dst_sel:DWORD dst_unused:UNUSED_PAD src0_sel:WORD_1 src1_sel:DWORD
	ds_write_b32 v43, v4 offset:1980
	v_pack_b32_f16 v4, v5, v12
	v_mul_f16_sdwa v5, v47, v14 dst_sel:DWORD dst_unused:UNUSED_PAD src0_sel:WORD_1 src1_sel:DWORD
	v_fma_f16 v13, v48, v13, -v21
	v_fmac_f16_e32 v6, v48, v8
	v_fma_f16 v12, v47, v14, -v15
	s_waitcnt vmcnt(5)
	v_lshrrev_b32_e32 v8, 16, v10
	v_fmac_f16_e32 v5, v47, v9
	s_waitcnt vmcnt(4)
	v_mul_f16_sdwa v14, v46, v10 dst_sel:DWORD dst_unused:UNUSED_PAD src0_sel:WORD_1 src1_sel:DWORD
	s_waitcnt vmcnt(3)
	v_lshrrev_b32_e32 v9, 16, v2
	s_waitcnt vmcnt(2)
	v_lshrrev_b32_e32 v15, 16, v3
	v_pack_b32_f16 v13, v6, v13
	v_mul_f16_sdwa v6, v46, v8 dst_sel:DWORD dst_unused:UNUSED_PAD src0_sel:WORD_1 src1_sel:DWORD
	v_fma_f16 v8, v46, v8, -v14
	s_waitcnt vmcnt(1)
	v_mul_f16_sdwa v14, v45, v2 dst_sel:DWORD dst_unused:UNUSED_PAD src0_sel:WORD_1 src1_sel:DWORD
	v_pack_b32_f16 v5, v5, v12
	v_mul_f16_sdwa v12, v45, v9 dst_sel:DWORD dst_unused:UNUSED_PAD src0_sel:WORD_1 src1_sel:DWORD
	s_waitcnt vmcnt(0)
	v_mul_f16_sdwa v21, v44, v15 dst_sel:DWORD dst_unused:UNUSED_PAD src0_sel:WORD_1 src1_sel:DWORD
	v_mul_f16_sdwa v22, v44, v3 dst_sel:DWORD dst_unused:UNUSED_PAD src0_sel:WORD_1 src1_sel:DWORD
	v_fmac_f16_e32 v6, v46, v10
	v_fma_f16 v9, v45, v9, -v14
	v_fmac_f16_e32 v12, v45, v2
	v_fmac_f16_e32 v21, v44, v3
	v_fma_f16 v2, v44, v15, -v22
	v_pack_b32_f16 v3, v6, v8
	v_add_nc_u32_e32 v6, 0x200, v43
	v_add_nc_u32_e32 v8, 0x800, v43
	v_pack_b32_f16 v9, v12, v9
	v_pack_b32_f16 v2, v21, v2
	ds_write2_b32 v43, v11, v4 offset1:110
	ds_write2_b32 v8, v13, v3 offset0:93 offset1:203
	ds_write2_b32 v6, v5, v9 offset0:92 offset1:202
	ds_write_b32 v43, v2 offset:3300
	s_and_saveexec_b32 s1, vcc_lo
	s_cbranch_execz .LBB0_3
; %bb.2:
	v_add_co_u32 v0, s0, v0, s14
	v_add_co_ci_u32_e64 v1, s0, s15, v1, s0
	v_add_co_u32 v2, s0, v0, s12
	v_add_co_ci_u32_e64 v3, s0, s13, v1, s0
	global_load_dword v0, v[0:1], off
	global_load_dword v1, v[2:3], off
	s_clause 0x1
	global_load_dword v2, v[16:17], off offset:1760
	global_load_dword v3, v[18:19], off offset:1692
	s_waitcnt vmcnt(3)
	v_lshrrev_b32_e32 v4, 16, v0
	s_waitcnt vmcnt(2)
	v_lshrrev_b32_e32 v5, 16, v1
	s_waitcnt vmcnt(1)
	v_mul_f16_sdwa v7, v2, v0 dst_sel:DWORD dst_unused:UNUSED_PAD src0_sel:WORD_1 src1_sel:DWORD
	s_waitcnt vmcnt(0)
	v_mul_f16_sdwa v10, v3, v1 dst_sel:DWORD dst_unused:UNUSED_PAD src0_sel:WORD_1 src1_sel:DWORD
	v_mul_f16_sdwa v8, v2, v4 dst_sel:DWORD dst_unused:UNUSED_PAD src0_sel:WORD_1 src1_sel:DWORD
	;; [unrolled: 1-line block ×3, first 2 shown]
	v_fma_f16 v4, v2, v4, -v7
	v_fmac_f16_e32 v8, v2, v0
	v_fmac_f16_e32 v9, v3, v1
	v_fma_f16 v0, v3, v5, -v10
	v_pack_b32_f16 v1, v8, v4
	v_pack_b32_f16 v0, v9, v0
	ds_write_b32 v43, v1 offset:1760
	ds_write_b32 v43, v0 offset:3740
.LBB0_3:
	s_or_b32 exec_lo, exec_lo, s1
	v_add_nc_u32_e32 v0, 0x600, v43
	v_add_nc_u32_e32 v7, 0xa00, v43
	s_waitcnt lgkmcnt(0)
	s_barrier
	buffer_gl0_inv
	ds_read2_b32 v[2:3], v43 offset1:110
	ds_read2_b32 v[4:5], v0 offset0:111 offset1:221
	ds_read2_b32 v[0:1], v6 offset0:92 offset1:202
	;; [unrolled: 1-line block ×3, first 2 shown]
	s_load_dwordx2 s[2:3], s[4:5], 0x8
                                        ; implicit-def: $vgpr10
                                        ; implicit-def: $vgpr11
	s_and_saveexec_b32 s0, vcc_lo
	s_cbranch_execz .LBB0_5
; %bb.4:
	ds_read_b32 v10, v43 offset:1760
	ds_read_b32 v11, v43 offset:3740
.LBB0_5:
	s_or_b32 exec_lo, exec_lo, s0
	v_add_co_u32 v9, s0, 0xdc, v49
	v_add_co_ci_u32_e64 v12, null, 0, 0, s0
	v_add_co_u32 v8, null, 0x6e, v49
	v_add_co_u32 v15, null, 0x1b8, v49
	s_waitcnt lgkmcnt(0)
	v_pk_add_f16 v12, v2, v4 neg_lo:[0,1] neg_hi:[0,1]
	v_pk_add_f16 v14, v3, v5 neg_lo:[0,1] neg_hi:[0,1]
	;; [unrolled: 1-line block ×3, first 2 shown]
	v_lshlrev_b16 v5, 1, v49
	v_mov_b32_e32 v7, 2
	v_pk_add_f16 v6, v0, v6 neg_lo:[0,1] neg_hi:[0,1]
	v_lshlrev_b32_e32 v59, 3, v49
	v_pk_add_f16 v4, v10, v11 neg_lo:[0,1] neg_hi:[0,1]
	v_pk_fma_f16 v11, v2, 2.0, v12 op_sel_hi:[1,0,1] neg_lo:[0,0,1] neg_hi:[0,0,1]
	v_lshlrev_b32_sdwa v55, v7, v5 dst_sel:DWORD dst_unused:UNUSED_PAD src0_sel:DWORD src1_sel:WORD_0
	v_lshlrev_b32_e32 v57, 3, v8
	v_lshlrev_b32_e32 v58, 3, v9
	;; [unrolled: 1-line block ×3, first 2 shown]
	v_pk_fma_f16 v13, v3, 2.0, v14 op_sel_hi:[1,0,1] neg_lo:[0,0,1] neg_hi:[0,0,1]
	v_pk_fma_f16 v5, v0, 2.0, v6 op_sel_hi:[1,0,1] neg_lo:[0,0,1] neg_hi:[0,0,1]
	;; [unrolled: 1-line block ×3, first 2 shown]
	s_barrier
	buffer_gl0_inv
	ds_write_b64 v55, v[11:12]
	ds_write_b64 v57, v[13:14]
	ds_write_b64 v58, v[5:6]
	ds_write_b64 v59, v[21:22] offset:2640
	s_and_saveexec_b32 s0, vcc_lo
	s_cbranch_execz .LBB0_7
; %bb.6:
	v_pk_fma_f16 v3, v10, 2.0, v4 op_sel_hi:[1,0,1] neg_lo:[0,0,1] neg_hi:[0,0,1]
	ds_write_b64 v56, v[3:4]
.LBB0_7:
	s_or_b32 exec_lo, exec_lo, s0
	v_and_b32_e32 v14, 1, v49
	s_waitcnt lgkmcnt(0)
	s_barrier
	buffer_gl0_inv
	v_add_nc_u32_e32 v15, 0x200, v43
	v_lshlrev_b32_e32 v0, 3, v14
	v_add_nc_u32_e32 v29, 0xa00, v43
	v_add_nc_u32_e32 v36, 0x600, v43
	v_lshrrev_b32_e32 v25, 1, v8
	v_mov_b32_e32 v27, 0xaaab
	global_load_dwordx2 v[21:22], v0, s[2:3]
	ds_read2_b32 v[2:3], v43 offset1:110
	ds_read_b32 v23, v43 offset:3520
	ds_read2_b32 v[5:6], v15 offset0:92 offset1:202
	ds_read2_b32 v[10:11], v29 offset0:20 offset1:130
	ds_read2_b32 v[12:13], v36 offset0:56 offset1:166
	v_mul_u32_u24_e32 v25, 6, v25
	v_mul_u32_u24_sdwa v27, v9, v27 dst_sel:DWORD dst_unused:UNUSED_PAD src0_sel:WORD_0 src1_sel:DWORD
	v_and_b32_e32 v1, 0xff, v49
	v_lshrrev_b32_e32 v24, 1, v49
	v_lshrrev_b32_e32 v26, 1, v9
	v_or_b32_e32 v25, v25, v14
	v_lshrrev_b32_e32 v34, 18, v27
	v_mul_lo_u16 v28, 0xab, v1
	v_and_b32_e32 v0, 0xff, v8
	v_mul_u32_u24_e32 v24, 6, v24
	v_lshlrev_b32_e32 v61, 2, v25
	v_mul_lo_u16 v25, v34, 6
	v_lshrrev_b16 v31, 10, v28
	v_mul_lo_u16 v30, 0xab, v0
	v_mul_u32_u24_e32 v26, 6, v26
	v_or_b32_e32 v24, v24, v14
	v_sub_nc_u16 v35, v9, v25
	s_waitcnt lgkmcnt(2)
	v_lshrrev_b32_e32 v9, 16, v6
	s_waitcnt lgkmcnt(1)
	v_lshrrev_b32_e32 v25, 16, v10
	;; [unrolled: 2-line block ×3, first 2 shown]
	v_lshrrev_b32_e32 v33, 16, v11
	v_lshrrev_b32_e32 v28, 16, v23
	;; [unrolled: 1-line block ×3, first 2 shown]
	v_lshrrev_b16 v30, 10, v30
	v_or_b32_e32 v14, v26, v14
	v_lshrrev_b32_e32 v38, 16, v5
	v_lshlrev_b32_e32 v62, 2, v24
	v_lshrrev_b32_e32 v26, 16, v2
	v_mul_lo_u16 v24, v30, 6
	v_lshrrev_b32_e32 v27, 16, v3
	v_lshlrev_b32_e32 v60, 2, v14
	v_mul_lo_u16 v14, v31, 6
	s_waitcnt vmcnt(0)
	v_sub_nc_u16 v24, v8, v24
	s_barrier
	buffer_gl0_inv
	v_sub_nc_u16 v14, v49, v14
	v_and_b32_e32 v37, 0xff, v24
	v_lshlrev_b16 v24, 3, v35
	v_and_b32_e32 v14, 0xff, v14
	v_lshlrev_b32_e32 v41, 3, v37
	v_and_b32_e32 v24, 0xffff, v24
	v_lshlrev_b32_e32 v40, 3, v14
	v_mul_f16_sdwa v42, v9, v21 dst_sel:DWORD dst_unused:UNUSED_PAD src0_sel:DWORD src1_sel:WORD_1
	v_mul_f16_sdwa v53, v6, v21 dst_sel:DWORD dst_unused:UNUSED_PAD src0_sel:DWORD src1_sel:WORD_1
	;; [unrolled: 1-line block ×12, first 2 shown]
	v_fma_f16 v6, v6, v21, -v42
	v_fmac_f16_e32 v53, v9, v21
	v_fma_f16 v9, v10, v22, -v54
	v_fmac_f16_e32 v63, v25, v22
	;; [unrolled: 2-line block ×6, first 2 shown]
	v_add_f16_e32 v25, v6, v9
	v_add_f16_e32 v33, v53, v63
	;; [unrolled: 1-line block ×5, first 2 shown]
	v_sub_f16_e32 v68, v69, v71
	v_add_f16_e32 v70, v38, v69
	v_add_f16_e32 v69, v69, v71
	v_add_f16_e32 v23, v2, v6
	v_sub_f16_e32 v28, v53, v63
	v_add_f16_e32 v32, v26, v53
	v_sub_f16_e32 v6, v6, v9
	v_sub_f16_e32 v53, v65, v67
	v_add_f16_e32 v54, v27, v65
	v_add_f16_e32 v65, v5, v12
	v_fma_f16 v2, -0.5, v25, v2
	v_fmac_f16_e32 v26, -0.5, v33
	v_add_f16_e32 v39, v3, v10
	v_sub_f16_e32 v10, v10, v11
	v_fmac_f16_e32 v3, -0.5, v42
	v_fmac_f16_e32 v27, -0.5, v64
	v_sub_f16_e32 v12, v12, v13
	v_fmac_f16_e32 v5, -0.5, v66
	v_fmac_f16_e32 v38, -0.5, v69
	v_add_f16_e32 v9, v23, v9
	v_add_f16_e32 v23, v32, v63
	;; [unrolled: 1-line block ×4, first 2 shown]
	v_fmamk_f16 v33, v28, 0x3aee, v2
	v_fmac_f16_e32 v2, 0xbaee, v28
	v_fmamk_f16 v28, v6, 0xbaee, v26
	v_fmac_f16_e32 v26, 0x3aee, v6
	v_add_f16_e32 v11, v39, v11
	v_add_f16_e32 v25, v54, v67
	v_fmamk_f16 v6, v53, 0x3aee, v3
	v_fmamk_f16 v39, v10, 0xbaee, v27
	v_fmac_f16_e32 v3, 0xbaee, v53
	v_fmac_f16_e32 v27, 0x3aee, v10
	v_fmamk_f16 v10, v68, 0x3aee, v5
	v_fmamk_f16 v42, v12, 0xbaee, v38
	v_fmac_f16_e32 v5, 0xbaee, v68
	v_fmac_f16_e32 v38, 0x3aee, v12
	v_pack_b32_f16 v9, v9, v23
	v_pack_b32_f16 v12, v13, v32
	;; [unrolled: 1-line block ×9, first 2 shown]
	ds_write2_b32 v62, v9, v13 offset1:2
	ds_write_b32 v62, v2 offset:16
	ds_write2_b32 v61, v11, v6 offset1:2
	ds_write_b32 v61, v3 offset:16
	;; [unrolled: 2-line block ×3, first 2 shown]
	v_add_co_u32 v2, s0, s2, v24
	v_add_co_ci_u32_e64 v3, null, s3, 0, s0
	s_waitcnt lgkmcnt(0)
	s_barrier
	buffer_gl0_inv
	s_clause 0x2
	global_load_dwordx2 v[27:28], v40, s[2:3] offset:16
	global_load_dwordx2 v[25:26], v41, s[2:3] offset:16
	global_load_dwordx2 v[23:24], v[2:3], off offset:16
	ds_read2_b32 v[32:33], v43 offset1:110
	ds_read2_b32 v[5:6], v15 offset0:92 offset1:202
	ds_read2_b32 v[2:3], v29 offset0:20 offset1:130
	;; [unrolled: 1-line block ×3, first 2 shown]
	ds_read_b32 v12, v43 offset:3520
	v_mov_b32_e32 v11, 18
	v_mad_u16 v15, v34, 18, v35
	s_waitcnt vmcnt(0) lgkmcnt(0)
	s_barrier
	buffer_gl0_inv
	v_mul_u32_u24_sdwa v13, v31, v11 dst_sel:DWORD dst_unused:UNUSED_PAD src0_sel:WORD_0 src1_sel:DWORD
	v_mul_u32_u24_sdwa v11, v30, v11 dst_sel:DWORD dst_unused:UNUSED_PAD src0_sel:WORD_0 src1_sel:DWORD
	v_lshlrev_b32_sdwa v63, v7, v15 dst_sel:DWORD dst_unused:UNUSED_PAD src0_sel:DWORD src1_sel:WORD_0
	v_cmp_gt_u16_e64 s0, 0x58, v49
	v_add_lshl_u32 v65, v13, v14, 2
	v_add_lshl_u32 v64, v11, v37, 2
	v_lshrrev_b32_e32 v11, 16, v32
	v_lshrrev_b32_e32 v7, 16, v6
	;; [unrolled: 1-line block ×9, first 2 shown]
	v_mul_f16_sdwa v34, v7, v27 dst_sel:DWORD dst_unused:UNUSED_PAD src0_sel:DWORD src1_sel:WORD_1
	v_mul_f16_sdwa v35, v6, v27 dst_sel:DWORD dst_unused:UNUSED_PAD src0_sel:DWORD src1_sel:WORD_1
	;; [unrolled: 1-line block ×12, first 2 shown]
	v_fma_f16 v6, v6, v27, -v34
	v_fmac_f16_e32 v35, v7, v27
	v_fma_f16 v2, v2, v28, -v37
	v_fmac_f16_e32 v38, v13, v28
	;; [unrolled: 2-line block ×6, first 2 shown]
	v_add_f16_e32 v13, v6, v2
	v_add_f16_e32 v30, v35, v38
	;; [unrolled: 1-line block ×5, first 2 shown]
	v_sub_f16_e32 v53, v54, v67
	v_add_f16_e32 v66, v29, v54
	v_add_f16_e32 v54, v54, v67
	;; [unrolled: 1-line block ×3, first 2 shown]
	v_sub_f16_e32 v14, v35, v38
	v_add_f16_e32 v15, v11, v35
	v_sub_f16_e32 v6, v6, v2
	v_add_f16_e32 v31, v33, v7
	;; [unrolled: 2-line block ×4, first 2 shown]
	v_fma_f16 v13, -0.5, v13, v32
	v_fmac_f16_e32 v11, -0.5, v30
	v_fmac_f16_e32 v33, -0.5, v34
	;; [unrolled: 1-line block ×3, first 2 shown]
	v_sub_f16_e32 v9, v9, v10
	v_fmac_f16_e32 v5, -0.5, v41
	v_fmac_f16_e32 v29, -0.5, v54
	v_add_f16_e32 v2, v12, v2
	v_add_f16_e32 v15, v15, v38
	v_add_f16_e32 v7, v7, v10
	v_fmamk_f16 v10, v14, 0x3aee, v13
	v_fmac_f16_e32 v13, 0xbaee, v14
	v_fmamk_f16 v14, v6, 0xbaee, v11
	v_fmac_f16_e32 v11, 0x3aee, v6
	v_add_f16_e32 v3, v31, v3
	v_add_f16_e32 v32, v37, v42
	v_fmamk_f16 v6, v35, 0x3aee, v33
	v_fmamk_f16 v34, v40, 0xbaee, v68
	v_fmac_f16_e32 v33, 0xbaee, v35
	v_fmac_f16_e32 v68, 0x3aee, v40
	v_add_f16_e32 v30, v66, v67
	v_fmamk_f16 v12, v53, 0x3aee, v5
	v_fmac_f16_e32 v5, 0xbaee, v53
	v_fmamk_f16 v31, v9, 0xbaee, v29
	v_fmac_f16_e32 v29, 0x3aee, v9
	v_pack_b32_f16 v2, v2, v15
	v_pack_b32_f16 v10, v10, v14
	;; [unrolled: 1-line block ×9, first 2 shown]
	ds_write2_b32 v65, v2, v10 offset1:6
	ds_write_b32 v65, v11 offset:48
	ds_write2_b32 v64, v3, v6 offset1:6
	ds_write_b32 v64, v13 offset:48
	;; [unrolled: 2-line block ×3, first 2 shown]
	s_waitcnt lgkmcnt(0)
	s_barrier
	buffer_gl0_inv
	ds_read2_b32 v[34:35], v43 offset1:198
	ds_read2_b32 v[14:15], v36 offset0:12 offset1:210
	ds_read_b32 v32, v43 offset:3168
	s_and_saveexec_b32 s1, s0
	s_cbranch_execz .LBB0_9
; %bb.8:
	v_add_nc_u32_e32 v2, 0x100, v43
	v_add_nc_u32_e32 v3, 0x780, v43
	ds_read2_b32 v[6:7], v2 offset0:46 offset1:244
	ds_read2_b32 v[12:13], v3 offset0:26 offset1:224
	ds_read_b32 v4, v43 offset:3608
	s_waitcnt lgkmcnt(2)
	v_lshrrev_b32_e32 v68, 16, v6
	v_lshrrev_b32_e32 v30, 16, v7
	s_waitcnt lgkmcnt(1)
	v_lshrrev_b32_e32 v31, 16, v12
	v_lshrrev_b32_e32 v29, 16, v13
	v_mov_b32_e32 v5, v13
	v_mov_b32_e32 v33, v6
.LBB0_9:
	s_or_b32 exec_lo, exec_lo, s1
	v_mul_lo_u16 v1, v1, 57
	v_mul_lo_u16 v0, v0, 57
	v_mov_b32_e32 v6, 0x5a
	s_waitcnt lgkmcnt(1)
	v_lshrrev_b32_e32 v38, 16, v14
	v_lshrrev_b32_e32 v39, 16, v15
	v_lshrrev_b16 v13, 10, v1
	v_lshrrev_b16 v53, 10, v0
	v_lshrrev_b32_e32 v37, 16, v35
	s_waitcnt lgkmcnt(0)
	v_lshrrev_b32_e32 v40, 16, v32
	v_lshrrev_b32_e32 v41, 16, v4
	v_mul_lo_u16 v1, v13, 18
	v_mul_u32_u24_sdwa v13, v13, v6 dst_sel:DWORD dst_unused:UNUSED_PAD src0_sel:WORD_0 src1_sel:DWORD
	v_lshrrev_b32_e32 v69, 16, v34
	v_sub_nc_u16 v0, v49, v1
	v_mul_lo_u16 v1, v53, 18
	v_and_b32_e32 v36, 0xff, v0
	v_sub_nc_u16 v0, v8, v1
	v_lshlrev_b32_e32 v1, 4, v36
	v_and_b32_e32 v54, 0xff, v0
	v_add_lshl_u32 v66, v13, v36, 2
	global_load_dwordx4 v[8:11], v1, s[2:3] offset:64
	v_lshlrev_b32_e32 v0, 4, v54
	global_load_dwordx4 v[0:3], v0, s[2:3] offset:64
	s_waitcnt vmcnt(0)
	s_barrier
	buffer_gl0_inv
	v_mul_f16_sdwa v42, v38, v9 dst_sel:DWORD dst_unused:UNUSED_PAD src0_sel:DWORD src1_sel:WORD_1
	v_mul_f16_sdwa v67, v14, v9 dst_sel:DWORD dst_unused:UNUSED_PAD src0_sel:DWORD src1_sel:WORD_1
	;; [unrolled: 1-line block ×16, first 2 shown]
	v_fma_f16 v14, v14, v9, -v42
	v_fmac_f16_e32 v67, v38, v9
	v_fma_f16 v15, v15, v10, -v70
	v_fmac_f16_e32 v71, v39, v10
	;; [unrolled: 2-line block ×8, first 2 shown]
	v_add_f16_e32 v30, v14, v15
	v_add_f16_e32 v72, v67, v71
	;; [unrolled: 1-line block ×5, first 2 shown]
	v_sub_f16_e32 v40, v36, v73
	v_sub_f16_e32 v31, v13, v14
	;; [unrolled: 1-line block ×4, first 2 shown]
	v_add_f16_e32 v42, v69, v36
	v_sub_f16_e32 v13, v13, v37
	v_add_f16_e32 v84, v33, v7
	v_add_f16_e32 v85, v12, v5
	;; [unrolled: 1-line block ×5, first 2 shown]
	v_fma_f16 v35, -0.5, v30, v34
	v_fma_f16 v79, -0.5, v72, v69
	v_sub_f16_e32 v70, v67, v71
	v_sub_f16_e32 v41, v15, v37
	v_sub_f16_e32 v74, v14, v15
	v_sub_f16_e32 v76, v36, v67
	v_sub_f16_e32 v78, v73, v71
	v_sub_f16_e32 v36, v67, v36
	v_sub_f16_e32 v81, v71, v73
	v_fmac_f16_e32 v34, -0.5, v38
	v_fmac_f16_e32 v69, -0.5, v80
	v_sub_f16_e32 v87, v75, v83
	v_sub_f16_e32 v88, v77, v82
	;; [unrolled: 1-line block ×5, first 2 shown]
	v_add_f16_e32 v93, v68, v75
	v_sub_f16_e32 v7, v7, v4
	v_sub_f16_e32 v95, v12, v5
	v_add_f16_e32 v14, v29, v14
	v_add_f16_e32 v29, v31, v32
	;; [unrolled: 1-line block ×4, first 2 shown]
	v_fma_f16 v38, -0.5, v85, v33
	v_fmac_f16_e32 v33, -0.5, v90
	v_fma_f16 v84, -0.5, v94, v68
	v_fmac_f16_e32 v68, -0.5, v98
	v_fmamk_f16 v32, v40, 0x3b9c, v35
	v_fmamk_f16 v80, v13, 0xbb9c, v79
	v_add_f16_e32 v30, v39, v41
	v_add_f16_e32 v72, v76, v78
	v_add_f16_e32 v76, v36, v81
	v_fmamk_f16 v39, v70, 0xbb9c, v34
	v_fmac_f16_e32 v34, 0x3b9c, v70
	v_fmamk_f16 v81, v74, 0x3b9c, v69
	v_fmac_f16_e32 v69, 0xbb9c, v74
	v_fmac_f16_e32 v35, 0xbb9c, v40
	;; [unrolled: 1-line block ×3, first 2 shown]
	v_sub_f16_e32 v92, v5, v4
	v_sub_f16_e32 v96, v75, v77
	;; [unrolled: 1-line block ×5, first 2 shown]
	v_add_f16_e32 v78, v86, v89
	v_add_f16_e32 v36, v93, v77
	;; [unrolled: 1-line block ×4, first 2 shown]
	v_fmamk_f16 v41, v87, 0x3b9c, v38
	v_fmac_f16_e32 v38, 0xbb9c, v87
	v_fmamk_f16 v42, v88, 0xbb9c, v33
	v_fmac_f16_e32 v33, 0x3b9c, v88
	;; [unrolled: 2-line block ×4, first 2 shown]
	v_fmac_f16_e32 v32, 0x38b4, v70
	v_fmac_f16_e32 v80, 0xb8b4, v74
	;; [unrolled: 1-line block ×8, first 2 shown]
	v_add_f16_e32 v89, v91, v92
	v_add_f16_e32 v77, v96, v97
	;; [unrolled: 1-line block ×7, first 2 shown]
	v_fmac_f16_e32 v41, 0x38b4, v88
	v_fmac_f16_e32 v38, 0xb8b4, v88
	;; [unrolled: 1-line block ×16, first 2 shown]
	v_add_f16_e32 v36, v5, v4
	v_add_f16_e32 v87, v12, v83
	v_fmac_f16_e32 v41, 0x34f2, v78
	v_fmac_f16_e32 v38, 0x34f2, v78
	;; [unrolled: 1-line block ×7, first 2 shown]
	v_pack_b32_f16 v4, v31, v67
	v_pack_b32_f16 v5, v32, v80
	v_fmac_f16_e32 v68, 0x34f2, v75
	v_pack_b32_f16 v7, v39, v81
	v_pack_b32_f16 v12, v34, v69
	;; [unrolled: 1-line block ×3, first 2 shown]
	ds_write2_b32 v66, v4, v5 offset1:18
	ds_write2_b32 v66, v7, v12 offset0:36 offset1:54
	ds_write_b32 v66, v13 offset:288
	s_and_saveexec_b32 s1, s0
	s_cbranch_execz .LBB0_11
; %bb.10:
	v_mul_u32_u24_sdwa v4, v53, v6 dst_sel:DWORD dst_unused:UNUSED_PAD src0_sel:WORD_0 src1_sel:DWORD
	v_perm_b32 v5, v87, v36, 0x5040100
	v_perm_b32 v6, v85, v41, 0x5040100
	;; [unrolled: 1-line block ×4, first 2 shown]
	v_add_lshl_u32 v4, v4, v54, 2
	v_perm_b32 v13, v84, v38, 0x5040100
	ds_write2_b32 v4, v5, v6 offset1:18
	ds_write2_b32 v4, v7, v12 offset0:36 offset1:54
	ds_write_b32 v4, v13 offset:288
.LBB0_11:
	s_or_b32 exec_lo, exec_lo, s1
	v_cmp_gt_u16_e64 s1, 0x5a, v49
	s_waitcnt lgkmcnt(0)
	s_barrier
	buffer_gl0_inv
                                        ; implicit-def: $vgpr88
                                        ; implicit-def: $vgpr89
	s_and_saveexec_b32 s4, s1
	s_cbranch_execz .LBB0_13
; %bb.12:
	v_add_nc_u32_e32 v4, 0x200, v43
	v_add_nc_u32_e32 v5, 0x400, v43
	;; [unrolled: 1-line block ×3, first 2 shown]
	ds_read2_b32 v[31:32], v43 offset1:90
	ds_read_b32 v88, v43 offset:3600
	ds_read2_b32 v[39:40], v4 offset0:52 offset1:142
	v_add_nc_u32_e32 v4, 0xa00, v43
	ds_read2_b32 v[35:36], v5 offset0:104 offset1:194
	ds_read2_b32 v[41:42], v6 offset0:28 offset1:118
	;; [unrolled: 1-line block ×3, first 2 shown]
	s_waitcnt lgkmcnt(5)
	v_lshrrev_b32_e32 v67, 16, v31
	v_lshrrev_b32_e32 v80, 16, v32
	s_waitcnt lgkmcnt(4)
	v_lshrrev_b32_e32 v89, 16, v88
	s_waitcnt lgkmcnt(3)
	v_lshrrev_b32_e32 v81, 16, v39
	v_lshrrev_b32_e32 v69, 16, v40
	s_waitcnt lgkmcnt(2)
	v_lshrrev_b32_e32 v79, 16, v35
	;; [unrolled: 3-line block ×4, first 2 shown]
	v_lshrrev_b32_e32 v84, 16, v38
	v_mov_b32_e32 v33, v37
	v_mov_b32_e32 v34, v40
.LBB0_13:
	s_or_b32 exec_lo, exec_lo, s4
	v_add_nc_u32_e32 v4, 0xffffffa6, v49
	v_cndmask_b32_e64 v4, v4, v49, s1
	v_mul_i32_i24_e32 v5, 40, v4
	v_mul_hi_i32_i24_e32 v4, 40, v4
	v_add_co_u32 v29, s2, s2, v5
	v_add_co_ci_u32_e64 v30, s2, s3, v4, s2
	s_clause 0x2
	global_load_dwordx4 v[12:15], v[29:30], off offset:352
	global_load_dwordx4 v[4:7], v[29:30], off offset:368
	global_load_dwordx2 v[29:30], v[29:30], off offset:384
	s_waitcnt vmcnt(2)
	v_mul_f16_sdwa v40, v80, v12 dst_sel:DWORD dst_unused:UNUSED_PAD src0_sel:DWORD src1_sel:WORD_1
	v_mul_f16_sdwa v78, v32, v12 dst_sel:DWORD dst_unused:UNUSED_PAD src0_sel:DWORD src1_sel:WORD_1
	s_waitcnt vmcnt(0)
	v_mul_f16_sdwa v97, v89, v30 dst_sel:DWORD dst_unused:UNUSED_PAD src0_sel:DWORD src1_sel:WORD_1
	v_mul_f16_sdwa v70, v88, v30 dst_sel:DWORD dst_unused:UNUSED_PAD src0_sel:DWORD src1_sel:WORD_1
	;; [unrolled: 1-line block ×7, first 2 shown]
	v_fma_f16 v83, v32, v12, -v40
	v_fmac_f16_e32 v78, v80, v12
	v_fma_f16 v32, v88, v30, -v97
	v_fmac_f16_e32 v70, v89, v30
	v_mul_f16_sdwa v76, v34, v14 dst_sel:DWORD dst_unused:UNUSED_PAD src0_sel:DWORD src1_sel:WORD_1
	v_mul_f16_sdwa v75, v35, v15 dst_sel:DWORD dst_unused:UNUSED_PAD src0_sel:DWORD src1_sel:WORD_1
	;; [unrolled: 1-line block ×5, first 2 shown]
	v_fma_f16 v82, v39, v13, -v82
	v_fmac_f16_e32 v77, v81, v13
	v_fma_f16 v81, v34, v14, -v90
	v_fma_f16 v34, v38, v29, -v96
	v_fmac_f16_e32 v37, v84, v29
	v_sub_f16_e32 v101, v83, v32
	v_sub_f16_e32 v123, v78, v70
	v_mul_f16_sdwa v91, v79, v15 dst_sel:DWORD dst_unused:UNUSED_PAD src0_sel:DWORD src1_sel:WORD_1
	v_mul_f16_sdwa v93, v85, v5 dst_sel:DWORD dst_unused:UNUSED_PAD src0_sel:DWORD src1_sel:WORD_1
	;; [unrolled: 1-line block ×5, first 2 shown]
	v_fmac_f16_e32 v76, v69, v14
	v_fmac_f16_e32 v75, v79, v15
	v_fma_f16 v79, v36, v4, -v92
	v_fma_f16 v33, v33, v7, -v95
	v_fmac_f16_e32 v71, v68, v7
	v_add_f16_e32 v97, v83, v32
	v_add_f16_e32 v125, v78, v70
	v_sub_f16_e32 v105, v82, v34
	v_sub_f16_e32 v124, v77, v37
	v_mul_f16_e32 v88, 0xb853, v123
	v_mul_f16_e32 v92, 0xb853, v101
	;; [unrolled: 1-line block ×6, first 2 shown]
	v_mul_f16_sdwa v74, v36, v4 dst_sel:DWORD dst_unused:UNUSED_PAD src0_sel:DWORD src1_sel:WORD_1
	v_fma_f16 v80, v35, v15, -v91
	v_fma_f16 v36, v41, v5, -v93
	v_fmac_f16_e32 v73, v85, v5
	v_fma_f16 v35, v42, v6, -v94
	v_fmac_f16_e32 v72, v86, v6
	v_add_f16_e32 v100, v82, v34
	v_add_f16_e32 v128, v77, v37
	v_sub_f16_e32 v109, v81, v33
	v_sub_f16_e32 v126, v76, v71
	v_mul_f16_e32 v85, 0xbb47, v124
	v_mul_f16_e32 v93, 0xbb47, v105
	;; [unrolled: 1-line block ×6, first 2 shown]
	v_fmamk_f16 v39, v97, 0x3abb, v88
	v_fma_f16 v40, v125, 0x3abb, -v92
	v_fmamk_f16 v41, v97, 0x36a6, v103
	v_fma_f16 v42, v125, 0x36a6, -v110
	;; [unrolled: 2-line block ×3, first 2 shown]
	v_fmac_f16_e32 v74, v87, v4
	v_add_f16_e32 v102, v81, v33
	v_add_f16_e32 v130, v76, v71
	v_sub_f16_e32 v112, v80, v35
	v_sub_f16_e32 v127, v75, v72
	v_mul_f16_e32 v86, 0xbbeb, v126
	v_mul_f16_e32 v94, 0xbbeb, v109
	v_mul_f16_e32 v96, 0x3482, v126
	v_mul_f16_e32 v107, 0x3482, v109
	v_mul_f16_e32 v114, 0x3b47, v126
	v_mul_f16_e32 v119, 0x3b47, v109
	v_fmamk_f16 v133, v100, 0x36a6, v85
	v_fma_f16 v134, v128, 0x36a6, -v93
	v_fmamk_f16 v135, v100, 0xb93d, v104
	v_fma_f16 v136, v128, 0xb93d, -v111
	;; [unrolled: 2-line block ×3, first 2 shown]
	v_add_f16_e32 v39, v31, v39
	v_add_f16_e32 v40, v67, v40
	;; [unrolled: 1-line block ×8, first 2 shown]
	v_sub_f16_e32 v113, v79, v36
	v_sub_f16_e32 v129, v74, v73
	v_mul_f16_e32 v87, 0xba0c, v127
	v_mul_f16_e32 v89, 0xba0c, v112
	;; [unrolled: 1-line block ×6, first 2 shown]
	v_fmamk_f16 v139, v102, 0xb08e, v86
	v_fma_f16 v140, v130, 0xb08e, -v94
	v_fmamk_f16 v141, v102, 0xbbad, v96
	v_fma_f16 v142, v130, 0xbbad, -v107
	;; [unrolled: 2-line block ×3, first 2 shown]
	v_add_f16_e32 v39, v133, v39
	v_add_f16_e32 v40, v134, v40
	;; [unrolled: 1-line block ×8, first 2 shown]
	v_mul_f16_e32 v38, 0xb482, v129
	v_mul_f16_e32 v90, 0xb482, v113
	;; [unrolled: 1-line block ×6, first 2 shown]
	v_fmamk_f16 v145, v108, 0xb93d, v87
	v_fma_f16 v146, v131, 0xb93d, -v89
	v_fmamk_f16 v147, v108, 0xb08e, v95
	v_fma_f16 v148, v131, 0xb08e, -v98
	;; [unrolled: 2-line block ×3, first 2 shown]
	v_add_f16_e32 v39, v139, v39
	v_add_f16_e32 v40, v140, v40
	v_add_f16_e32 v41, v141, v41
	v_add_f16_e32 v42, v142, v42
	v_add_f16_e32 v68, v143, v68
	v_add_f16_e32 v69, v144, v69
	v_fmamk_f16 v151, v106, 0xbbad, v38
	v_fma_f16 v152, v132, 0xbbad, -v90
	v_fmamk_f16 v153, v106, 0x3abb, v84
	v_fma_f16 v154, v132, 0x3abb, -v99
	;; [unrolled: 2-line block ×3, first 2 shown]
	v_add_f16_e32 v39, v145, v39
	v_add_f16_e32 v133, v146, v40
	;; [unrolled: 1-line block ×12, first 2 shown]
	s_and_saveexec_b32 s2, s1
	s_cbranch_execz .LBB0_15
; %bb.14:
	v_mul_f16_e32 v167, 0xba0c, v123
	v_mul_f16_e32 v171, 0x3beb, v124
	;; [unrolled: 1-line block ×5, first 2 shown]
	v_fmamk_f16 v170, v97, 0xb93d, v167
	v_fmamk_f16 v173, v100, 0xb08e, v171
	;; [unrolled: 1-line block ×3, first 2 shown]
	v_mul_f16_e32 v175, 0xb482, v127
	v_fmamk_f16 v163, v105, 0xbbeb, v159
	v_add_f16_e32 v170, v31, v170
	v_mul_f16_e32 v164, 0x3abb, v130
	v_add_f16_e32 v158, v67, v158
	v_mul_f16_e32 v176, 0x3b47, v129
	v_mul_f16_e32 v168, 0xbbad, v131
	v_add_f16_e32 v170, v173, v170
	v_fmamk_f16 v173, v102, 0x3abb, v174
	v_add_f16_e32 v158, v163, v158
	v_fmamk_f16 v163, v109, 0x3853, v164
	v_mul_f16_e32 v123, 0xb482, v123
	v_mul_f16_e32 v172, 0x36a6, v132
	v_add_f16_e32 v170, v173, v170
	v_fmamk_f16 v173, v108, 0xbbad, v175
	v_add_f16_e32 v158, v163, v158
	v_fmamk_f16 v163, v112, 0x3482, v168
	v_mul_f16_e32 v124, 0x3853, v124
	v_mul_f16_e32 v134, 0x3abb, v125
	v_add_f16_e32 v170, v173, v170
	v_fmamk_f16 v173, v106, 0x36a6, v176
	v_mul_f16_e32 v136, 0x36a6, v125
	v_mul_f16_e32 v138, 0xb08e, v125
	v_add_f16_e32 v158, v163, v158
	v_fmamk_f16 v163, v113, 0xbb47, v172
	v_add_f16_e32 v170, v173, v170
	v_fmamk_f16 v173, v97, 0xbbad, v123
	v_fma_f16 v123, v97, 0xbbad, -v123
	v_mul_f16_e32 v125, 0xbbad, v125
	v_fmamk_f16 v178, v100, 0x3abb, v124
	v_mul_f16_e32 v126, 0xba0c, v126
	v_fma_f16 v124, v100, 0x3abb, -v124
	v_add_f16_e32 v123, v31, v123
	v_mul_f16_e32 v140, 0x36a6, v128
	v_mul_f16_e32 v142, 0xb93d, v128
	;; [unrolled: 1-line block ×3, first 2 shown]
	v_add_f16_e32 v158, v163, v158
	v_fmamk_f16 v163, v101, 0x3482, v125
	v_mul_f16_e32 v128, 0x3abb, v128
	v_fmac_f16_e32 v125, 0xb482, v101
	v_mul_f16_e32 v127, 0x3b47, v127
	v_fmac_f16_e32 v153, 0xba0c, v101
	v_add_f16_e32 v101, v124, v123
	v_fma_f16 v123, v102, 0xb93d, -v126
	v_mul_f16_e32 v133, 0x3abb, v97
	v_mul_f16_e32 v135, 0x36a6, v97
	;; [unrolled: 1-line block ×3, first 2 shown]
	v_fmamk_f16 v177, v105, 0xb853, v128
	v_fmac_f16_e32 v128, 0x3853, v105
	v_mul_f16_e32 v129, 0xbbeb, v129
	v_fmac_f16_e32 v159, 0x3beb, v105
	v_add_f16_e32 v101, v123, v101
	v_fma_f16 v105, v108, 0x36a6, -v127
	v_fma_f16 v97, v97, 0xb93d, -v167
	v_mul_f16_e32 v139, 0x36a6, v100
	v_mul_f16_e32 v141, 0xb93d, v100
	;; [unrolled: 1-line block ×6, first 2 shown]
	v_add_f16_e32 v163, v67, v163
	v_mul_f16_e32 v130, 0xb93d, v130
	v_add_f16_e32 v173, v31, v173
	v_add_f16_e32 v101, v105, v101
	;; [unrolled: 1-line block ×3, first 2 shown]
	v_fma_f16 v100, v100, 0xb08e, -v171
	v_fma_f16 v105, v106, 0xb08e, -v129
	v_add_f16_e32 v121, v121, v138
	v_add_f16_e32 v83, v31, v83
	;; [unrolled: 1-line block ×3, first 2 shown]
	v_mul_f16_e32 v145, 0xb08e, v102
	v_mul_f16_e32 v147, 0xbbad, v102
	;; [unrolled: 1-line block ×6, first 2 shown]
	v_add_f16_e32 v163, v177, v163
	v_fmamk_f16 v177, v109, 0x3a0c, v130
	v_mul_f16_e32 v131, 0x36a6, v131
	v_add_f16_e32 v173, v178, v173
	v_fmamk_f16 v178, v102, 0xb93d, v126
	v_add_f16_e32 v125, v67, v125
	v_add_f16_e32 v97, v100, v97
	v_fma_f16 v100, v102, 0x3abb, -v174
	v_add_f16_e32 v101, v105, v101
	v_add_f16_e32 v102, v67, v121
	;; [unrolled: 1-line block ×5, first 2 shown]
	v_mul_f16_e32 v161, 0xbbad, v132
	v_mul_f16_e32 v165, 0x3abb, v132
	;; [unrolled: 1-line block ×3, first 2 shown]
	v_add_f16_e32 v163, v177, v163
	v_fmamk_f16 v177, v112, 0xbb47, v131
	v_mul_f16_e32 v132, 0xb08e, v132
	v_add_f16_e32 v125, v128, v125
	v_fmac_f16_e32 v130, 0xba0c, v109
	v_add_f16_e32 v102, v105, v102
	v_add_f16_e32 v105, v119, v150
	;; [unrolled: 1-line block ×5, first 2 shown]
	v_fmamk_f16 v177, v113, 0x3beb, v132
	v_add_f16_e32 v125, v130, v125
	v_fmac_f16_e32 v131, 0x3b47, v112
	v_add_f16_e32 v102, v105, v102
	v_add_f16_e32 v105, v120, v157
	v_add_f16_e32 v110, v110, v136
	v_add_f16_e32 v77, v92, v134
	v_add_f16_e32 v80, v81, v80
	v_add_f16_e32 v75, v76, v75
	v_mul_f16_e32 v151, 0xb93d, v108
	v_mul_f16_e32 v154, 0xb08e, v108
	;; [unrolled: 1-line block ×3, first 2 shown]
	v_add_f16_e32 v163, v177, v163
	v_fmamk_f16 v177, v108, 0x36a6, v127
	v_add_f16_e32 v124, v131, v125
	v_add_f16_e32 v125, v67, v153
	;; [unrolled: 1-line block ×3, first 2 shown]
	v_fma_f16 v100, v108, 0xbbad, -v175
	v_sub_f16_e32 v108, v137, v116
	v_add_f16_e32 v102, v105, v102
	v_add_f16_e32 v105, v67, v110
	v_sub_f16_e32 v103, v135, v103
	v_sub_f16_e32 v88, v133, v88
	v_add_f16_e32 v67, v67, v77
	v_add_f16_e32 v77, v80, v79
	;; [unrolled: 1-line block ×8, first 2 shown]
	v_sub_f16_e32 v75, v139, v85
	v_add_f16_e32 v36, v77, v36
	v_add_f16_e32 v73, v74, v73
	v_sub_f16_e32 v108, v143, v117
	v_add_f16_e32 v110, v111, v142
	v_sub_f16_e32 v104, v141, v104
	v_add_f16_e32 v67, v76, v67
	v_add_f16_e32 v76, v94, v146
	;; [unrolled: 1-line block ×3, first 2 shown]
	v_sub_f16_e32 v74, v145, v86
	v_add_f16_e32 v35, v36, v35
	v_add_f16_e32 v36, v73, v72
	v_fmac_f16_e32 v132, 0xbbeb, v113
	v_mul_f16_e32 v160, 0xbbad, v106
	v_add_f16_e32 v100, v108, v100
	v_sub_f16_e32 v108, v149, v114
	v_add_f16_e32 v105, v110, v105
	v_add_f16_e32 v107, v107, v148
	v_add_f16_e32 v103, v104, v103
	v_sub_f16_e32 v96, v147, v96
	v_add_f16_e32 v67, v76, v67
	v_add_f16_e32 v72, v89, v152
	;; [unrolled: 4-line block ×3, first 2 shown]
	v_add_f16_e32 v123, v132, v124
	v_add_f16_e32 v124, v159, v125
	v_fmac_f16_e32 v164, 0xb853, v109
	v_mul_f16_e32 v162, 0x3abb, v106
	v_mul_f16_e32 v166, 0xb93d, v106
	v_add_f16_e32 v100, v108, v100
	v_sub_f16_e32 v108, v156, v115
	v_add_f16_e32 v105, v107, v105
	v_add_f16_e32 v98, v98, v155
	;; [unrolled: 1-line block ×3, first 2 shown]
	v_sub_f16_e32 v82, v154, v95
	v_add_f16_e32 v36, v72, v67
	v_add_f16_e32 v67, v90, v161
	;; [unrolled: 1-line block ×5, first 2 shown]
	v_sub_f16_e32 v35, v160, v38
	v_add_f16_e32 v173, v178, v173
	v_add_f16_e32 v109, v164, v124
	v_fmac_f16_e32 v168, 0xb482, v112
	v_add_f16_e32 v111, v118, v169
	v_add_f16_e32 v100, v108, v100
	;; [unrolled: 1-line block ×9, first 2 shown]
	v_sub_f16_e32 v34, v162, v84
	v_sub_f16_e32 v35, v166, v91
	v_add_f16_e32 v128, v177, v173
	v_fmamk_f16 v173, v106, 0xb08e, v129
	v_add_f16_e32 v109, v168, v109
	v_fmac_f16_e32 v172, 0x3b47, v113
	v_fma_f16 v106, v106, 0x36a6, -v176
	v_add_f16_e32 v102, v111, v102
	v_add_f16_e32 v38, v83, v78
	v_pack_b32_f16 v32, v32, v33
	v_pack_b32_f16 v31, v31, v36
	v_add_f16_e32 v33, v34, v37
	v_add_f16_e32 v34, v35, v100
	;; [unrolled: 1-line block ×5, first 2 shown]
	ds_write2_b32 v43, v32, v31 offset1:90
	v_pack_b32_f16 v31, v33, v38
	v_pack_b32_f16 v32, v34, v102
	v_add_nc_u32_e32 v33, 0x200, v43
	v_pack_b32_f16 v34, v36, v35
	v_pack_b32_f16 v35, v101, v123
	v_add_nc_u32_e32 v36, 0x400, v43
	;; [unrolled: 3-line block ×3, first 2 shown]
	v_perm_b32 v70, v42, v41, 0x5040100
	v_perm_b32 v71, v69, v68, 0x5040100
	v_add_nc_u32_e32 v72, 0xa00, v43
	v_perm_b32 v73, v39, v40, 0x5040100
	ds_write2_b32 v33, v31, v32 offset0:52 offset1:142
	ds_write2_b32 v36, v34, v35 offset0:104 offset1:194
	;; [unrolled: 1-line block ×4, first 2 shown]
	ds_write_b32 v43, v73 offset:3600
.LBB0_15:
	s_or_b32 exec_lo, exec_lo, s2
	s_waitcnt lgkmcnt(0)
	s_barrier
	buffer_gl0_inv
	global_load_dword v35, v[18:19], off offset:1912
	v_add_co_u32 v31, s2, 0xf78, v16
	v_add_co_ci_u32_e64 v32, s2, 0, v17, s2
	v_add_co_u32 v33, s2, 0x1800, v16
	v_add_co_ci_u32_e64 v34, s2, 0, v17, s2
	s_clause 0x6
	global_load_dword v36, v[31:32], off offset:440
	global_load_dword v67, v[31:32], off offset:1980
	;; [unrolled: 1-line block ×7, first 2 shown]
	ds_read2_b32 v[33:34], v43 offset1:110
	s_waitcnt lgkmcnt(0)
	v_lshrrev_b32_e32 v37, 16, v33
	s_waitcnt vmcnt(7)
	v_mul_f16_sdwa v38, v37, v35 dst_sel:DWORD dst_unused:UNUSED_PAD src0_sel:DWORD src1_sel:WORD_1
	v_mul_f16_sdwa v70, v33, v35 dst_sel:DWORD dst_unused:UNUSED_PAD src0_sel:DWORD src1_sel:WORD_1
	v_fma_f16 v33, v33, v35, -v38
	v_fmac_f16_e32 v70, v37, v35
	v_add_nc_u32_e32 v35, 0x600, v43
	v_add_nc_u32_e32 v37, 0x200, v43
	;; [unrolled: 1-line block ×3, first 2 shown]
	s_waitcnt vmcnt(6)
	v_mul_f16_sdwa v82, v34, v36 dst_sel:DWORD dst_unused:UNUSED_PAD src0_sel:DWORD src1_sel:WORD_1
	v_pack_b32_f16 v33, v33, v70
	ds_write_b32 v43, v33
	ds_read2_b32 v[70:71], v35 offset0:111 offset1:221
	ds_read2_b32 v[72:73], v37 offset0:92 offset1:202
	;; [unrolled: 1-line block ×3, first 2 shown]
	v_lshrrev_b32_e32 v33, 16, v34
	v_mul_f16_sdwa v81, v33, v36 dst_sel:DWORD dst_unused:UNUSED_PAD src0_sel:DWORD src1_sel:WORD_1
	v_fmac_f16_e32 v82, v33, v36
	v_add_nc_u32_e32 v33, 0x800, v43
	v_fma_f16 v34, v34, v36, -v81
	v_add_nc_u32_e32 v36, 0x400, v43
	v_pack_b32_f16 v34, v34, v82
	s_waitcnt lgkmcnt(2)
	v_lshrrev_b32_e32 v81, 16, v70
	s_waitcnt vmcnt(5)
	v_mul_f16_sdwa v82, v70, v67 dst_sel:DWORD dst_unused:UNUSED_PAD src0_sel:DWORD src1_sel:WORD_1
	v_lshrrev_b32_e32 v83, 16, v71
	s_waitcnt vmcnt(4)
	v_mul_f16_sdwa v84, v71, v76 dst_sel:DWORD dst_unused:UNUSED_PAD src0_sel:DWORD src1_sel:WORD_1
	s_waitcnt lgkmcnt(1)
	v_lshrrev_b32_e32 v85, 16, v72
	s_waitcnt vmcnt(3)
	v_mul_f16_sdwa v86, v72, v77 dst_sel:DWORD dst_unused:UNUSED_PAD src0_sel:DWORD src1_sel:WORD_1
	s_waitcnt lgkmcnt(0)
	v_lshrrev_b32_e32 v87, 16, v74
	s_waitcnt vmcnt(2)
	v_mul_f16_sdwa v88, v74, v78 dst_sel:DWORD dst_unused:UNUSED_PAD src0_sel:DWORD src1_sel:WORD_1
	v_lshrrev_b32_e32 v89, 16, v73
	s_waitcnt vmcnt(0)
	v_mul_f16_sdwa v90, v73, v80 dst_sel:DWORD dst_unused:UNUSED_PAD src0_sel:DWORD src1_sel:WORD_1
	v_lshrrev_b32_e32 v91, 16, v75
	v_mul_f16_sdwa v93, v81, v67 dst_sel:DWORD dst_unused:UNUSED_PAD src0_sel:DWORD src1_sel:WORD_1
	v_fmac_f16_e32 v82, v81, v67
	v_mul_f16_sdwa v81, v83, v76 dst_sel:DWORD dst_unused:UNUSED_PAD src0_sel:DWORD src1_sel:WORD_1
	v_fmac_f16_e32 v84, v83, v76
	;; [unrolled: 2-line block ×4, first 2 shown]
	v_mul_f16_sdwa v87, v89, v80 dst_sel:DWORD dst_unused:UNUSED_PAD src0_sel:DWORD src1_sel:WORD_1
	v_mul_f16_sdwa v92, v75, v79 dst_sel:DWORD dst_unused:UNUSED_PAD src0_sel:DWORD src1_sel:WORD_1
	v_fmac_f16_e32 v90, v89, v80
	v_mul_f16_sdwa v89, v91, v79 dst_sel:DWORD dst_unused:UNUSED_PAD src0_sel:DWORD src1_sel:WORD_1
	v_fma_f16 v67, v70, v67, -v93
	v_fma_f16 v70, v71, v76, -v81
	;; [unrolled: 1-line block ×5, first 2 shown]
	v_fmac_f16_e32 v92, v91, v79
	v_fma_f16 v74, v75, v79, -v89
	v_pack_b32_f16 v71, v71, v86
	v_pack_b32_f16 v70, v70, v84
	;; [unrolled: 1-line block ×6, first 2 shown]
	ds_write2_b32 v43, v34, v71 offset0:110 offset1:220
	ds_write2_b32 v33, v70, v72 offset0:93 offset1:203
	;; [unrolled: 1-line block ×3, first 2 shown]
	ds_write_b32 v43, v74 offset:3300
	s_and_saveexec_b32 s3, vcc_lo
	s_cbranch_execz .LBB0_17
; %bb.16:
	v_add_co_u32 v33, s2, 0x800, v31
	v_add_co_ci_u32_e64 v34, s2, 0, v32, s2
	s_clause 0x1
	global_load_dword v31, v[31:32], off offset:1760
	global_load_dword v32, v[33:34], off offset:1692
	ds_read_b32 v33, v43 offset:1760
	ds_read_b32 v34, v43 offset:3740
	s_waitcnt lgkmcnt(1)
	v_lshrrev_b32_e32 v36, 16, v33
	s_waitcnt lgkmcnt(0)
	v_lshrrev_b32_e32 v67, 16, v34
	s_waitcnt vmcnt(1)
	v_mul_f16_sdwa v70, v36, v31 dst_sel:DWORD dst_unused:UNUSED_PAD src0_sel:DWORD src1_sel:WORD_1
	v_mul_f16_sdwa v71, v33, v31 dst_sel:DWORD dst_unused:UNUSED_PAD src0_sel:DWORD src1_sel:WORD_1
	s_waitcnt vmcnt(0)
	v_mul_f16_sdwa v72, v67, v32 dst_sel:DWORD dst_unused:UNUSED_PAD src0_sel:DWORD src1_sel:WORD_1
	v_mul_f16_sdwa v73, v34, v32 dst_sel:DWORD dst_unused:UNUSED_PAD src0_sel:DWORD src1_sel:WORD_1
	v_fma_f16 v33, v33, v31, -v70
	v_fmac_f16_e32 v71, v36, v31
	v_fma_f16 v31, v34, v32, -v72
	v_fmac_f16_e32 v73, v67, v32
	v_pack_b32_f16 v32, v33, v71
	v_pack_b32_f16 v31, v31, v73
	ds_write_b32 v43, v32 offset:1760
	ds_write_b32 v43, v31 offset:3740
.LBB0_17:
	s_or_b32 exec_lo, exec_lo, s3
	s_waitcnt lgkmcnt(0)
	s_barrier
	buffer_gl0_inv
	ds_read2_b32 v[33:34], v43 offset1:110
	ds_read2_b32 v[35:36], v35 offset0:111 offset1:221
	ds_read2_b32 v[31:32], v37 offset0:92 offset1:202
	;; [unrolled: 1-line block ×3, first 2 shown]
	v_add_nc_u32_e32 v59, 0xa50, v59
	s_and_saveexec_b32 s2, vcc_lo
	s_cbranch_execz .LBB0_19
; %bb.18:
	ds_read_b32 v41, v43 offset:1760
	ds_read_b32 v68, v43 offset:3740
	s_waitcnt lgkmcnt(1)
	v_lshrrev_b32_e32 v42, 16, v41
	s_waitcnt lgkmcnt(0)
	v_lshrrev_b32_e32 v69, 16, v68
.LBB0_19:
	s_or_b32 exec_lo, exec_lo, s2
	s_waitcnt lgkmcnt(2)
	v_pk_add_f16 v70, v33, v35 neg_lo:[0,1] neg_hi:[0,1]
	v_pk_add_f16 v72, v34, v36 neg_lo:[0,1] neg_hi:[0,1]
	s_waitcnt lgkmcnt(0)
	v_pk_add_f16 v74, v31, v37 neg_lo:[0,1] neg_hi:[0,1]
	v_pk_add_f16 v38, v32, v38 neg_lo:[0,1] neg_hi:[0,1]
	v_sub_f16_e32 v36, v41, v68
	v_sub_f16_e32 v35, v42, v69
	v_pk_fma_f16 v69, v33, 2.0, v70 op_sel_hi:[1,0,1] neg_lo:[0,0,1] neg_hi:[0,0,1]
	v_pk_fma_f16 v71, v34, 2.0, v72 op_sel_hi:[1,0,1] neg_lo:[0,0,1] neg_hi:[0,0,1]
	;; [unrolled: 1-line block ×4, first 2 shown]
	s_barrier
	buffer_gl0_inv
	ds_write_b64 v55, v[69:70]
	ds_write_b64 v57, v[71:72]
	;; [unrolled: 1-line block ×4, first 2 shown]
	s_and_saveexec_b32 s2, vcc_lo
	s_cbranch_execz .LBB0_21
; %bb.20:
	v_fma_f16 v31, v41, 2.0, -v36
	v_fma_f16 v32, v42, 2.0, -v35
	v_pack_b32_f16 v31, v31, v32
	v_perm_b32 v32, v35, v36, 0x5040100
	ds_write_b64 v56, v[31:32]
.LBB0_21:
	s_or_b32 exec_lo, exec_lo, s2
	v_add_nc_u32_e32 v55, 0x200, v43
	v_add_nc_u32_e32 v56, 0xa00, v43
	;; [unrolled: 1-line block ×3, first 2 shown]
	s_waitcnt lgkmcnt(0)
	s_barrier
	buffer_gl0_inv
	ds_read2_b32 v[31:32], v43 offset1:110
	ds_read_b32 v58, v43 offset:3520
	ds_read2_b32 v[33:34], v55 offset0:92 offset1:202
	ds_read2_b32 v[37:38], v56 offset0:20 offset1:130
	;; [unrolled: 1-line block ×3, first 2 shown]
	s_waitcnt lgkmcnt(0)
	s_barrier
	buffer_gl0_inv
	v_lshrrev_b32_e32 v68, 16, v58
	v_lshrrev_b32_e32 v69, 16, v34
	;; [unrolled: 1-line block ×5, first 2 shown]
	v_mul_f16_sdwa v75, v21, v34 dst_sel:DWORD dst_unused:UNUSED_PAD src0_sel:WORD_1 src1_sel:DWORD
	v_mul_f16_sdwa v76, v22, v37 dst_sel:DWORD dst_unused:UNUSED_PAD src0_sel:WORD_1 src1_sel:DWORD
	;; [unrolled: 1-line block ×3, first 2 shown]
	v_lshrrev_b32_e32 v74, 16, v42
	v_mul_f16_sdwa v79, v21, v69 dst_sel:DWORD dst_unused:UNUSED_PAD src0_sel:WORD_1 src1_sel:DWORD
	v_fma_f16 v69, v21, v69, -v75
	v_mul_f16_sdwa v75, v22, v70 dst_sel:DWORD dst_unused:UNUSED_PAD src0_sel:WORD_1 src1_sel:DWORD
	v_fma_f16 v70, v22, v70, -v76
	;; [unrolled: 2-line block ×3, first 2 shown]
	v_mul_f16_sdwa v77, v22, v72 dst_sel:DWORD dst_unused:UNUSED_PAD src0_sel:WORD_1 src1_sel:DWORD
	v_mul_f16_sdwa v78, v22, v38 dst_sel:DWORD dst_unused:UNUSED_PAD src0_sel:WORD_1 src1_sel:DWORD
	;; [unrolled: 1-line block ×3, first 2 shown]
	v_fmac_f16_e32 v79, v21, v34
	v_fmac_f16_e32 v75, v22, v37
	;; [unrolled: 1-line block ×4, first 2 shown]
	v_mul_f16_sdwa v34, v21, v42 dst_sel:DWORD dst_unused:UNUSED_PAD src0_sel:WORD_1 src1_sel:DWORD
	v_mul_f16_sdwa v38, v22, v68 dst_sel:DWORD dst_unused:UNUSED_PAD src0_sel:WORD_1 src1_sel:DWORD
	;; [unrolled: 1-line block ×3, first 2 shown]
	v_lshrrev_b32_e32 v59, 16, v31
	v_fma_f16 v37, v22, v72, -v78
	v_fmac_f16_e32 v80, v21, v42
	v_fma_f16 v21, v21, v74, -v34
	v_add_f16_e32 v34, v79, v75
	v_fmac_f16_e32 v38, v22, v58
	v_fma_f16 v22, v22, v68, -v41
	v_add_f16_e32 v41, v69, v70
	v_add_f16_e32 v42, v31, v79
	v_fma_f16 v31, -0.5, v34, v31
	v_sub_f16_e32 v34, v69, v70
	v_add_f16_e32 v58, v59, v69
	v_fmac_f16_e32 v59, -0.5, v41
	v_sub_f16_e32 v41, v79, v75
	v_lshrrev_b32_e32 v67, 16, v32
	v_fmamk_f16 v68, v34, 0xbaee, v31
	v_fmac_f16_e32 v31, 0x3aee, v34
	v_add_f16_e32 v34, v58, v70
	v_add_f16_e32 v58, v76, v77
	v_fmamk_f16 v69, v41, 0x3aee, v59
	v_fmac_f16_e32 v59, 0xbaee, v41
	v_add_f16_e32 v41, v71, v37
	v_add_f16_e32 v70, v32, v76
	v_fmac_f16_e32 v32, -0.5, v58
	v_sub_f16_e32 v58, v71, v37
	v_add_f16_e32 v71, v67, v71
	v_fmac_f16_e32 v67, -0.5, v41
	v_sub_f16_e32 v41, v76, v77
	v_lshrrev_b32_e32 v73, 16, v33
	v_fmamk_f16 v72, v58, 0xbaee, v32
	v_fmac_f16_e32 v32, 0x3aee, v58
	v_add_f16_e32 v37, v71, v37
	v_add_f16_e32 v58, v80, v38
	v_fmamk_f16 v71, v41, 0x3aee, v67
	v_fmac_f16_e32 v67, 0xbaee, v41
	v_add_f16_e32 v41, v21, v22
	v_add_f16_e32 v42, v42, v75
	;; [unrolled: 1-line block ×3, first 2 shown]
	v_fmac_f16_e32 v33, -0.5, v58
	v_sub_f16_e32 v58, v21, v22
	v_add_f16_e32 v21, v73, v21
	v_fmac_f16_e32 v73, -0.5, v41
	v_sub_f16_e32 v41, v80, v38
	v_add_f16_e32 v70, v70, v77
	v_pack_b32_f16 v34, v42, v34
	v_pack_b32_f16 v42, v68, v69
	v_add_f16_e32 v38, v74, v38
	v_fmamk_f16 v74, v58, 0xbaee, v33
	v_add_f16_e32 v21, v21, v22
	v_fmamk_f16 v22, v41, 0x3aee, v73
	v_fmac_f16_e32 v33, 0x3aee, v58
	v_fmac_f16_e32 v73, 0xbaee, v41
	v_pack_b32_f16 v31, v31, v59
	ds_write2_b32 v62, v34, v42 offset1:2
	v_pack_b32_f16 v34, v70, v37
	v_pack_b32_f16 v37, v72, v71
	v_pack_b32_f16 v32, v32, v67
	v_pack_b32_f16 v21, v38, v21
	v_pack_b32_f16 v22, v74, v22
	v_pack_b32_f16 v33, v33, v73
	ds_write_b32 v62, v31 offset:16
	ds_write2_b32 v61, v34, v37 offset1:2
	ds_write_b32 v61, v32 offset:16
	ds_write2_b32 v60, v21, v22 offset1:2
	ds_write_b32 v60, v33 offset:16
	s_waitcnt lgkmcnt(0)
	s_barrier
	buffer_gl0_inv
	ds_read2_b32 v[21:22], v43 offset1:110
	ds_read2_b32 v[31:32], v55 offset0:92 offset1:202
	ds_read2_b32 v[37:38], v56 offset0:20 offset1:130
	;; [unrolled: 1-line block ×3, first 2 shown]
	ds_read_b32 v55, v43 offset:3520
	s_waitcnt lgkmcnt(0)
	s_barrier
	buffer_gl0_inv
	v_lshrrev_b32_e32 v56, 16, v21
	v_lshrrev_b32_e32 v58, 16, v32
	;; [unrolled: 1-line block ×5, first 2 shown]
	v_mul_f16_sdwa v68, v27, v32 dst_sel:DWORD dst_unused:UNUSED_PAD src0_sel:WORD_1 src1_sel:DWORD
	v_mul_f16_sdwa v62, v27, v58 dst_sel:DWORD dst_unused:UNUSED_PAD src0_sel:WORD_1 src1_sel:DWORD
	v_mul_f16_sdwa v70, v28, v59 dst_sel:DWORD dst_unused:UNUSED_PAD src0_sel:WORD_1 src1_sel:DWORD
	v_lshrrev_b32_e32 v67, 16, v42
	v_lshrrev_b32_e32 v69, 16, v55
	v_lshrrev_b32_e32 v33, 16, v22
	v_fmac_f16_e32 v62, v27, v32
	v_mul_f16_sdwa v32, v28, v37 dst_sel:DWORD dst_unused:UNUSED_PAD src0_sel:WORD_1 src1_sel:DWORD
	v_fma_f16 v27, v27, v58, -v68
	v_mul_f16_sdwa v58, v25, v60 dst_sel:DWORD dst_unused:UNUSED_PAD src0_sel:WORD_1 src1_sel:DWORD
	v_fmac_f16_e32 v70, v28, v37
	v_mul_f16_sdwa v37, v25, v41 dst_sel:DWORD dst_unused:UNUSED_PAD src0_sel:WORD_1 src1_sel:DWORD
	v_fma_f16 v28, v28, v59, -v32
	v_mul_f16_sdwa v32, v26, v61 dst_sel:DWORD dst_unused:UNUSED_PAD src0_sel:WORD_1 src1_sel:DWORD
	;; [unrolled: 4-line block ×4, first 2 shown]
	v_fmac_f16_e32 v37, v23, v42
	v_mul_f16_sdwa v42, v24, v55 dst_sel:DWORD dst_unused:UNUSED_PAD src0_sel:WORD_1 src1_sel:DWORD
	v_fma_f16 v23, v23, v67, -v38
	v_add_f16_e32 v38, v62, v70
	v_fmac_f16_e32 v41, v24, v55
	v_add_f16_e32 v55, v21, v62
	v_fma_f16 v24, v24, v69, -v42
	v_add_f16_e32 v42, v27, v28
	v_fma_f16 v59, -0.5, v38, v21
	v_sub_f16_e32 v21, v27, v28
	v_add_f16_e32 v27, v56, v27
	v_sub_f16_e32 v38, v62, v70
	v_fmac_f16_e32 v56, -0.5, v42
	v_add_f16_e32 v60, v22, v58
	v_fmamk_f16 v42, v21, 0xbaee, v59
	v_fmac_f16_e32 v59, 0x3aee, v21
	v_add_f16_e32 v21, v58, v32
	v_add_f16_e32 v27, v27, v28
	v_fmamk_f16 v28, v38, 0x3aee, v56
	v_fmac_f16_e32 v56, 0xbaee, v38
	v_add_f16_e32 v38, v25, v26
	v_fmac_f16_e32 v22, -0.5, v21
	v_sub_f16_e32 v21, v25, v26
	v_add_f16_e32 v25, v33, v25
	v_lshrrev_b32_e32 v34, 16, v31
	v_add_f16_e32 v60, v60, v32
	v_fmac_f16_e32 v33, -0.5, v38
	v_sub_f16_e32 v32, v58, v32
	v_fmamk_f16 v58, v21, 0xbaee, v22
	v_fmac_f16_e32 v22, 0x3aee, v21
	v_add_f16_e32 v21, v37, v41
	v_add_f16_e32 v25, v25, v26
	;; [unrolled: 1-line block ×4, first 2 shown]
	v_fmamk_f16 v61, v32, 0x3aee, v33
	v_fmac_f16_e32 v33, 0xbaee, v32
	v_add_f16_e32 v32, v31, v37
	v_fmac_f16_e32 v31, -0.5, v21
	v_sub_f16_e32 v38, v23, v24
	v_add_f16_e32 v23, v34, v23
	v_fmac_f16_e32 v34, -0.5, v26
	v_sub_f16_e32 v62, v37, v41
	v_add_f16_e32 v26, v32, v41
	v_fmamk_f16 v21, v38, 0xbaee, v31
	v_fmac_f16_e32 v31, 0x3aee, v38
	v_add_f16_e32 v38, v23, v24
	v_pack_b32_f16 v23, v55, v27
	v_pack_b32_f16 v24, v42, v28
	v_fmamk_f16 v37, v62, 0x3aee, v34
	v_fmac_f16_e32 v34, 0xbaee, v62
	v_pack_b32_f16 v27, v22, v33
	v_pack_b32_f16 v28, v26, v38
	ds_write2_b32 v65, v23, v24 offset1:6
	v_pack_b32_f16 v23, v59, v56
	v_pack_b32_f16 v24, v60, v25
	;; [unrolled: 1-line block ×5, first 2 shown]
	ds_write_b32 v65, v23 offset:48
	ds_write2_b32 v64, v24, v25 offset1:6
	ds_write_b32 v64, v27 offset:48
	ds_write2_b32 v63, v28, v32 offset1:6
	ds_write_b32 v63, v41 offset:48
	s_waitcnt lgkmcnt(0)
	s_barrier
	buffer_gl0_inv
	ds_read2_b32 v[23:24], v43 offset1:198
	ds_read2_b32 v[27:28], v57 offset0:12 offset1:210
	ds_read_b32 v41, v43 offset:3168
	s_and_saveexec_b32 s2, s0
	s_cbranch_execz .LBB0_23
; %bb.22:
	v_add_nc_u32_e32 v21, 0x100, v43
	v_add_nc_u32_e32 v22, 0x780, v43
	ds_read_b32 v36, v43 offset:3608
	ds_read2_b32 v[25:26], v21 offset0:46 offset1:244
	ds_read2_b32 v[21:22], v22 offset0:26 offset1:224
	s_waitcnt lgkmcnt(2)
	v_lshrrev_b32_e32 v35, 16, v36
	s_waitcnt lgkmcnt(1)
	v_lshrrev_b32_e32 v33, 16, v25
	v_lshrrev_b32_e32 v38, 16, v26
	s_waitcnt lgkmcnt(0)
	v_lshrrev_b32_e32 v37, 16, v21
	v_lshrrev_b32_e32 v34, 16, v22
	v_mov_b32_e32 v31, v22
	v_mov_b32_e32 v22, v25
.LBB0_23:
	s_or_b32 exec_lo, exec_lo, s2
	s_waitcnt lgkmcnt(2)
	v_lshrrev_b32_e32 v25, 16, v24
	s_waitcnt lgkmcnt(1)
	v_lshrrev_b32_e32 v42, 16, v27
	v_mul_f16_sdwa v55, v8, v24 dst_sel:DWORD dst_unused:UNUSED_PAD src0_sel:WORD_1 src1_sel:DWORD
	v_lshrrev_b32_e32 v56, 16, v28
	s_waitcnt lgkmcnt(0)
	v_lshrrev_b32_e32 v58, 16, v41
	v_mul_f16_sdwa v57, v8, v25 dst_sel:DWORD dst_unused:UNUSED_PAD src0_sel:WORD_1 src1_sel:DWORD
	v_mul_f16_sdwa v59, v9, v27 dst_sel:DWORD dst_unused:UNUSED_PAD src0_sel:WORD_1 src1_sel:DWORD
	v_fma_f16 v25, v8, v25, -v55
	v_mul_f16_sdwa v55, v9, v42 dst_sel:DWORD dst_unused:UNUSED_PAD src0_sel:WORD_1 src1_sel:DWORD
	v_mul_f16_sdwa v60, v11, v58 dst_sel:DWORD dst_unused:UNUSED_PAD src0_sel:WORD_1 src1_sel:DWORD
	v_fmac_f16_e32 v57, v8, v24
	v_mul_f16_sdwa v24, v10, v56 dst_sel:DWORD dst_unused:UNUSED_PAD src0_sel:WORD_1 src1_sel:DWORD
	v_mul_f16_sdwa v8, v10, v28 dst_sel:DWORD dst_unused:UNUSED_PAD src0_sel:WORD_1 src1_sel:DWORD
	v_fmac_f16_e32 v55, v9, v27
	v_fmac_f16_e32 v60, v11, v41
	v_mul_f16_sdwa v27, v0, v26 dst_sel:DWORD dst_unused:UNUSED_PAD src0_sel:WORD_1 src1_sel:DWORD
	v_fmac_f16_e32 v24, v10, v28
	v_fma_f16 v10, v10, v56, -v8
	v_mul_f16_sdwa v8, v11, v41 dst_sel:DWORD dst_unused:UNUSED_PAD src0_sel:WORD_1 src1_sel:DWORD
	v_mul_f16_sdwa v41, v0, v38 dst_sel:DWORD dst_unused:UNUSED_PAD src0_sel:WORD_1 src1_sel:DWORD
	v_fma_f16 v9, v9, v42, -v59
	v_mul_f16_sdwa v42, v1, v37 dst_sel:DWORD dst_unused:UNUSED_PAD src0_sel:WORD_1 src1_sel:DWORD
	v_mul_f16_sdwa v28, v1, v21 dst_sel:DWORD dst_unused:UNUSED_PAD src0_sel:WORD_1 src1_sel:DWORD
	v_fma_f16 v11, v11, v58, -v8
	v_fmac_f16_e32 v41, v0, v26
	v_fma_f16 v38, v0, v38, -v27
	v_add_f16_e32 v0, v55, v24
	v_mul_f16_sdwa v56, v2, v34 dst_sel:DWORD dst_unused:UNUSED_PAD src0_sel:WORD_1 src1_sel:DWORD
	v_lshrrev_b32_e32 v32, 16, v23
	v_fmac_f16_e32 v42, v1, v21
	v_fma_f16 v37, v1, v37, -v28
	v_mul_f16_sdwa v1, v2, v31 dst_sel:DWORD dst_unused:UNUSED_PAD src0_sel:WORD_1 src1_sel:DWORD
	v_mul_f16_sdwa v58, v3, v35 dst_sel:DWORD dst_unused:UNUSED_PAD src0_sel:WORD_1 src1_sel:DWORD
	v_add_f16_e32 v21, v23, v57
	v_fma_f16 v8, -0.5, v0, v23
	v_sub_f16_e32 v27, v25, v11
	v_fmac_f16_e32 v56, v2, v31
	v_add_f16_e32 v28, v57, v60
	v_mul_f16_sdwa v31, v3, v36 dst_sel:DWORD dst_unused:UNUSED_PAD src0_sel:WORD_1 src1_sel:DWORD
	v_fma_f16 v34, v2, v34, -v1
	v_fmac_f16_e32 v58, v3, v36
	v_add_f16_e32 v0, v21, v55
	v_fmamk_f16 v1, v27, 0xbb9c, v8
	v_sub_f16_e32 v21, v9, v10
	v_sub_f16_e32 v2, v57, v55
	;; [unrolled: 1-line block ×3, first 2 shown]
	v_fmac_f16_e32 v23, -0.5, v28
	v_fma_f16 v3, v3, v35, -v31
	v_fmac_f16_e32 v8, 0x3b9c, v27
	v_add_f16_e32 v31, v32, v25
	v_fmac_f16_e32 v1, 0xb8b4, v21
	v_add_f16_e32 v36, v2, v26
	v_fmamk_f16 v2, v21, 0x3b9c, v23
	v_sub_f16_e32 v26, v55, v57
	v_sub_f16_e32 v28, v24, v60
	v_fmac_f16_e32 v8, 0x38b4, v21
	v_add_f16_e32 v35, v9, v10
	v_fmac_f16_e32 v23, 0xbb9c, v21
	v_add_f16_e32 v21, v31, v9
	v_add_f16_e32 v28, v26, v28
	v_sub_f16_e32 v31, v57, v60
	v_fma_f16 v26, -0.5, v35, v32
	v_add_f16_e32 v35, v25, v11
	v_add_f16_e32 v21, v21, v10
	;; [unrolled: 1-line block ×3, first 2 shown]
	v_fmac_f16_e32 v1, 0x34f2, v36
	v_fmac_f16_e32 v2, 0xb8b4, v27
	;; [unrolled: 1-line block ×4, first 2 shown]
	v_fmamk_f16 v27, v31, 0x3b9c, v26
	v_sub_f16_e32 v24, v55, v24
	v_sub_f16_e32 v36, v25, v9
	;; [unrolled: 1-line block ×3, first 2 shown]
	v_fmac_f16_e32 v32, -0.5, v35
	v_add_f16_e32 v21, v21, v11
	v_fmac_f16_e32 v26, 0xbb9c, v31
	v_sub_f16_e32 v9, v9, v25
	v_sub_f16_e32 v10, v10, v11
	v_add_f16_e32 v11, v56, v42
	v_fmac_f16_e32 v2, 0x34f2, v28
	v_fmac_f16_e32 v23, 0x34f2, v28
	;; [unrolled: 1-line block ×3, first 2 shown]
	v_add_f16_e32 v35, v36, v55
	v_fmamk_f16 v28, v24, 0xbb9c, v32
	v_fmac_f16_e32 v26, 0xb8b4, v24
	v_add_f16_e32 v9, v9, v10
	v_fmac_f16_e32 v32, 0x3b9c, v24
	v_add_f16_e32 v10, v22, v41
	v_fma_f16 v24, -0.5, v11, v22
	v_sub_f16_e32 v25, v38, v3
	v_fmac_f16_e32 v27, 0x34f2, v35
	v_fmac_f16_e32 v28, 0x38b4, v31
	;; [unrolled: 1-line block ×4, first 2 shown]
	v_add_f16_e32 v11, v42, v10
	v_fmamk_f16 v10, v25, 0xbb9c, v24
	v_sub_f16_e32 v31, v37, v34
	v_sub_f16_e32 v35, v41, v42
	;; [unrolled: 1-line block ×3, first 2 shown]
	v_fmac_f16_e32 v24, 0x3b9c, v25
	v_add_f16_e32 v55, v58, v41
	v_fmac_f16_e32 v10, 0xb8b4, v31
	v_add_f16_e32 v11, v56, v11
	v_add_f16_e32 v35, v36, v35
	v_fmac_f16_e32 v24, 0x38b4, v31
	v_fmac_f16_e32 v22, -0.5, v55
	v_sub_f16_e32 v55, v42, v41
	v_sub_f16_e32 v57, v56, v58
	v_fmac_f16_e32 v10, 0x34f2, v35
	v_fmac_f16_e32 v24, 0x34f2, v35
	v_add_f16_e32 v35, v34, v37
	v_fmac_f16_e32 v28, 0x34f2, v9
	v_fmac_f16_e32 v32, 0x34f2, v9
	v_add_f16_e32 v9, v58, v11
	v_fmamk_f16 v11, v31, 0x3b9c, v22
	v_fmac_f16_e32 v22, 0xbb9c, v31
	v_add_f16_e32 v31, v38, v33
	v_fma_f16 v36, -0.5, v35, v33
	v_add_f16_e32 v35, v57, v55
	v_add_f16_e32 v55, v3, v38
	v_sub_f16_e32 v41, v41, v58
	v_fmac_f16_e32 v11, 0xb8b4, v25
	v_fmac_f16_e32 v22, 0x38b4, v25
	v_add_f16_e32 v25, v37, v31
	v_sub_f16_e32 v42, v42, v56
	v_fmac_f16_e32 v33, -0.5, v55
	v_fmamk_f16 v31, v41, 0x3b9c, v36
	v_fmac_f16_e32 v11, 0x34f2, v35
	v_fmac_f16_e32 v22, 0x34f2, v35
	v_add_f16_e32 v25, v34, v25
	v_sub_f16_e32 v55, v38, v37
	v_sub_f16_e32 v56, v3, v34
	v_fmac_f16_e32 v36, 0xbb9c, v41
	v_fmamk_f16 v35, v42, 0xbb9c, v33
	v_sub_f16_e32 v37, v37, v38
	v_sub_f16_e32 v34, v34, v3
	v_fmac_f16_e32 v33, 0x3b9c, v42
	v_add_f16_e32 v0, v0, v60
	v_fmac_f16_e32 v31, 0x38b4, v42
	v_add_f16_e32 v38, v56, v55
	v_fmac_f16_e32 v36, 0xb8b4, v42
	v_fmac_f16_e32 v35, 0x38b4, v41
	v_add_f16_e32 v37, v34, v37
	v_fmac_f16_e32 v33, 0xb8b4, v41
	v_add_f16_e32 v34, v3, v25
	v_fmac_f16_e32 v31, 0x34f2, v38
	v_fmac_f16_e32 v36, 0x34f2, v38
	;; [unrolled: 1-line block ×4, first 2 shown]
	v_pack_b32_f16 v3, v0, v21
	v_pack_b32_f16 v25, v1, v27
	;; [unrolled: 1-line block ×5, first 2 shown]
	s_barrier
	buffer_gl0_inv
	ds_write2_b32 v66, v3, v25 offset1:18
	ds_write2_b32 v66, v37, v38 offset0:36 offset1:54
	ds_write_b32 v66, v41 offset:288
	s_and_saveexec_b32 s2, s0
	s_cbranch_execz .LBB0_25
; %bb.24:
	v_mov_b32_e32 v3, 0x5a
	v_perm_b32 v25, v34, v9, 0x5040100
	v_perm_b32 v37, v31, v10, 0x5040100
	;; [unrolled: 1-line block ×4, first 2 shown]
	v_mul_u32_u24_sdwa v3, v53, v3 dst_sel:DWORD dst_unused:UNUSED_PAD src0_sel:WORD_0 src1_sel:DWORD
	v_perm_b32 v42, v36, v24, 0x5040100
	v_add_lshl_u32 v3, v3, v54, 2
	ds_write2_b32 v3, v25, v37 offset1:18
	ds_write2_b32 v3, v38, v41 offset0:36 offset1:54
	ds_write_b32 v3, v42 offset:288
.LBB0_25:
	s_or_b32 exec_lo, exec_lo, s2
	s_waitcnt lgkmcnt(0)
	s_barrier
	buffer_gl0_inv
	s_and_saveexec_b32 s0, s1
	s_cbranch_execz .LBB0_27
; %bb.26:
	v_add_nc_u32_e32 v8, 0x400, v43
	v_add_nc_u32_e32 v2, 0x200, v43
	;; [unrolled: 1-line block ×4, first 2 shown]
	ds_read2_b32 v[0:1], v43 offset1:90
	ds_read_b32 v40, v43 offset:3600
	ds_read2_b32 v[2:3], v2 offset0:52 offset1:142
	ds_read2_b32 v[8:9], v8 offset0:104 offset1:194
	;; [unrolled: 1-line block ×4, first 2 shown]
	s_waitcnt lgkmcnt(5)
	v_lshrrev_b32_e32 v21, 16, v0
	v_lshrrev_b32_e32 v27, 16, v1
	s_waitcnt lgkmcnt(4)
	v_lshrrev_b32_e32 v39, 16, v40
	s_waitcnt lgkmcnt(3)
	v_lshrrev_b32_e32 v28, 16, v2
	v_lshrrev_b32_e32 v32, 16, v3
	s_waitcnt lgkmcnt(2)
	v_lshrrev_b32_e32 v26, 16, v8
	;; [unrolled: 3-line block ×4, first 2 shown]
	v_lshrrev_b32_e32 v36, 16, v24
	v_mov_b32_e32 v22, v23
	v_mov_b32_e32 v23, v3
.LBB0_27:
	s_or_b32 exec_lo, exec_lo, s0
	s_and_saveexec_b32 s0, s1
	s_cbranch_execz .LBB0_29
; %bb.28:
	v_mul_f16_sdwa v37, v12, v27 dst_sel:DWORD dst_unused:UNUSED_PAD src0_sel:WORD_1 src1_sel:DWORD
	v_mul_f16_sdwa v3, v30, v39 dst_sel:DWORD dst_unused:UNUSED_PAD src0_sel:WORD_1 src1_sel:DWORD
	;; [unrolled: 1-line block ×5, first 2 shown]
	v_fmac_f16_e32 v37, v12, v1
	v_fmac_f16_e32 v3, v30, v40
	v_mul_f16_sdwa v40, v30, v40 dst_sel:DWORD dst_unused:UNUSED_PAD src0_sel:WORD_1 src1_sel:DWORD
	v_fmac_f16_e32 v38, v13, v2
	v_fmac_f16_e32 v25, v29, v24
	v_mul_f16_sdwa v24, v29, v24 dst_sel:DWORD dst_unused:UNUSED_PAD src0_sel:WORD_1 src1_sel:DWORD
	v_sub_f16_e32 v42, v37, v3
	v_mul_f16_sdwa v53, v13, v2 dst_sel:DWORD dst_unused:UNUSED_PAD src0_sel:WORD_1 src1_sel:DWORD
	v_fma_f16 v1, v30, v39, -v40
	v_fma_f16 v27, v12, v27, -v41
	v_sub_f16_e32 v12, v38, v25
	v_fma_f16 v2, v29, v36, -v24
	v_fma_f16 v13, v13, v28, -v53
	v_mul_f16_e32 v24, 0xbb47, v42
	v_add_f16_e32 v28, v1, v27
	v_mul_f16_e32 v29, 0xba0c, v12
	v_mul_f16_sdwa v40, v14, v32 dst_sel:DWORD dst_unused:UNUSED_PAD src0_sel:WORD_1 src1_sel:DWORD
	v_add_f16_e32 v30, v2, v13
	v_mul_f16_sdwa v41, v7, v33 dst_sel:DWORD dst_unused:UNUSED_PAD src0_sel:WORD_1 src1_sel:DWORD
	v_fmamk_f16 v36, v28, 0x36a6, v24
	v_mul_f16_sdwa v53, v7, v22 dst_sel:DWORD dst_unused:UNUSED_PAD src0_sel:WORD_1 src1_sel:DWORD
	v_fmac_f16_e32 v40, v14, v23
	v_fmamk_f16 v39, v30, 0xb93d, v29
	v_fmac_f16_e32 v41, v7, v22
	v_add_f16_e32 v36, v21, v36
	v_mul_f16_sdwa v23, v14, v23 dst_sel:DWORD dst_unused:UNUSED_PAD src0_sel:WORD_1 src1_sel:DWORD
	v_fma_f16 v7, v7, v33, -v53
	v_sub_f16_e32 v55, v27, v1
	v_sub_f16_e32 v54, v40, v41
	v_add_f16_e32 v22, v39, v36
	v_mul_f16_sdwa v36, v15, v26 dst_sel:DWORD dst_unused:UNUSED_PAD src0_sel:WORD_1 src1_sel:DWORD
	v_mul_f16_sdwa v39, v6, v35 dst_sel:DWORD dst_unused:UNUSED_PAD src0_sel:WORD_1 src1_sel:DWORD
	v_fma_f16 v14, v14, v32, -v23
	v_mul_f16_e32 v23, 0x3482, v54
	v_add_f16_e32 v56, v3, v37
	v_fmac_f16_e32 v36, v15, v8
	v_fmac_f16_e32 v39, v6, v11
	v_mul_f16_sdwa v11, v6, v11 dst_sel:DWORD dst_unused:UNUSED_PAD src0_sel:WORD_1 src1_sel:DWORD
	v_mul_f16_sdwa v8, v15, v8 dst_sel:DWORD dst_unused:UNUSED_PAD src0_sel:WORD_1 src1_sel:DWORD
	v_add_f16_e32 v32, v7, v14
	v_mul_f16_e32 v57, 0xbb47, v55
	v_sub_f16_e32 v33, v36, v39
	v_fma_f16 v6, v6, v35, -v11
	v_fma_f16 v8, v15, v26, -v8
	v_mul_f16_sdwa v11, v4, v34 dst_sel:DWORD dst_unused:UNUSED_PAD src0_sel:WORD_1 src1_sel:DWORD
	v_mul_f16_sdwa v26, v5, v31 dst_sel:DWORD dst_unused:UNUSED_PAD src0_sel:WORD_1 src1_sel:DWORD
	v_fmamk_f16 v15, v32, 0xbbad, v23
	v_mul_f16_e32 v35, 0x3beb, v33
	v_add_f16_e32 v53, v6, v8
	v_fmac_f16_e32 v11, v4, v9
	v_fmac_f16_e32 v26, v5, v10
	v_sub_f16_e32 v59, v13, v2
	v_mul_f16_sdwa v10, v5, v10 dst_sel:DWORD dst_unused:UNUSED_PAD src0_sel:WORD_1 src1_sel:DWORD
	v_mul_f16_sdwa v9, v4, v9 dst_sel:DWORD dst_unused:UNUSED_PAD src0_sel:WORD_1 src1_sel:DWORD
	v_add_f16_e32 v15, v15, v22
	v_fmamk_f16 v22, v53, 0xb08e, v35
	v_sub_f16_e32 v58, v11, v26
	v_fma_f16 v60, v56, 0x36a6, -v57
	v_add_f16_e32 v61, v25, v38
	v_mul_f16_e32 v62, 0xba0c, v59
	v_fma_f16 v5, v5, v31, -v10
	v_sub_f16_e32 v10, v14, v7
	v_fma_f16 v4, v4, v34, -v9
	v_add_f16_e32 v9, v0, v60
	v_fma_f16 v31, v61, 0xb93d, -v62
	v_add_f16_e32 v34, v41, v40
	v_mul_f16_e32 v60, 0x3482, v10
	v_mul_f16_e32 v63, 0x3853, v58
	v_sub_f16_e32 v64, v8, v6
	v_add_f16_e32 v65, v5, v4
	v_add_f16_e32 v15, v22, v15
	v_mul_f16_e32 v22, 0xbbeb, v42
	v_add_f16_e32 v9, v31, v9
	v_fma_f16 v31, v34, 0xbbad, -v60
	v_add_f16_e32 v66, v39, v36
	v_mul_f16_e32 v67, 0x3beb, v64
	v_fmamk_f16 v68, v65, 0x3abb, v63
	v_fmamk_f16 v69, v28, 0xb08e, v22
	v_mul_f16_e32 v70, 0x3482, v12
	v_add_f16_e32 v9, v31, v9
	v_fma_f16 v31, v66, 0xb08e, -v67
	v_add_f16_e32 v15, v68, v15
	v_add_f16_e32 v68, v21, v69
	v_fmamk_f16 v69, v30, 0xbbad, v70
	v_mul_f16_e32 v71, 0x3b47, v54
	v_add_f16_e32 v9, v31, v9
	v_sub_f16_e32 v31, v4, v5
	v_mul_f16_e32 v75, 0xb853, v33
	v_add_f16_e32 v68, v69, v68
	v_fmamk_f16 v69, v32, 0x36a6, v71
	v_add_f16_e32 v72, v26, v11
	v_mul_f16_e32 v73, 0x3853, v31
	v_mul_f16_e32 v74, 0xbbeb, v55
	;; [unrolled: 1-line block ×3, first 2 shown]
	v_add_f16_e32 v68, v69, v68
	v_fmamk_f16 v69, v53, 0x3abb, v75
	v_fma_f16 v76, v72, 0x3abb, -v73
	v_fma_f16 v77, v56, 0xb08e, -v74
	v_mul_f16_e32 v80, 0xba0c, v42
	v_mul_f16_e32 v79, 0x3b47, v10
	v_add_f16_e32 v68, v69, v68
	v_mul_f16_e32 v69, 0xba0c, v58
	v_add_f16_e32 v9, v76, v9
	v_add_f16_e32 v76, v0, v77
	v_fma_f16 v77, v61, 0xbbad, -v78
	v_fmamk_f16 v83, v28, 0xb93d, v80
	v_fmamk_f16 v82, v65, 0xb93d, v69
	v_mul_f16_e32 v84, 0x3beb, v12
	v_mul_f16_e32 v81, 0xb853, v64
	v_add_f16_e32 v76, v77, v76
	v_fma_f16 v77, v34, 0x36a6, -v79
	v_add_f16_e32 v68, v82, v68
	v_add_f16_e32 v82, v21, v83
	v_fmamk_f16 v83, v30, 0xb08e, v84
	v_mul_f16_e32 v85, 0xb853, v54
	v_add_f16_e32 v76, v77, v76
	v_fma_f16 v77, v66, 0x3abb, -v81
	v_mul_f16_e32 v87, 0xb482, v33
	v_add_f16_e32 v82, v83, v82
	v_fmamk_f16 v83, v32, 0x3abb, v85
	v_fma_f16 v24, v28, 0x36a6, -v24
	v_add_f16_e32 v76, v77, v76
	v_mul_f16_e32 v77, 0xba0c, v31
	v_mul_f16_e32 v86, 0xba0c, v55
	v_add_f16_e32 v82, v83, v82
	v_fmamk_f16 v83, v53, 0xbbad, v87
	v_add_f16_e32 v24, v21, v24
	v_fma_f16 v29, v30, 0xb93d, -v29
	v_fma_f16 v88, v72, 0xb93d, -v77
	;; [unrolled: 1-line block ×3, first 2 shown]
	v_mul_f16_e32 v90, 0x3beb, v59
	v_add_f16_e32 v82, v83, v82
	v_mul_f16_e32 v83, 0x3b47, v58
	v_mul_f16_e32 v92, 0xb482, v42
	v_add_f16_e32 v24, v29, v24
	v_fma_f16 v23, v32, 0xbbad, -v23
	v_add_f16_e32 v76, v88, v76
	v_add_f16_e32 v88, v0, v89
	v_fma_f16 v89, v61, 0xb08e, -v90
	v_mul_f16_e32 v91, 0xb853, v10
	v_fmamk_f16 v94, v65, 0x36a6, v83
	v_fmamk_f16 v95, v28, 0xbbad, v92
	v_mul_f16_e32 v96, 0x3853, v12
	v_fma_f16 v92, v28, 0xbbad, -v92
	v_fma_f16 v80, v28, 0xb93d, -v80
	;; [unrolled: 1-line block ×3, first 2 shown]
	v_fmac_f16_e32 v57, 0x36a6, v56
	v_add_f16_e32 v23, v23, v24
	v_fma_f16 v24, v53, 0xb08e, -v35
	v_mul_f16_e32 v28, 0x3abb, v28
	v_add_f16_e32 v88, v89, v88
	v_fma_f16 v89, v34, 0x3abb, -v91
	v_mul_f16_e32 v93, 0xb482, v64
	v_add_f16_e32 v82, v94, v82
	v_add_f16_e32 v94, v21, v95
	v_fmamk_f16 v95, v30, 0x3abb, v96
	v_mul_f16_e32 v97, 0xba0c, v54
	v_add_f16_e32 v92, v21, v92
	v_fma_f16 v96, v30, 0x3abb, -v96
	v_add_f16_e32 v80, v21, v80
	v_fma_f16 v84, v30, 0xb08e, -v84
	;; [unrolled: 2-line block ×3, first 2 shown]
	v_add_f16_e32 v35, v0, v57
	v_fmac_f16_e32 v62, 0xb93d, v61
	v_add_f16_e32 v23, v24, v23
	v_fmamk_f16 v24, v42, 0x3853, v28
	v_mul_f16_e32 v30, 0x36a6, v30
	v_add_f16_e32 v88, v89, v88
	v_fma_f16 v89, v66, 0xbbad, -v93
	v_add_f16_e32 v94, v95, v94
	v_fmamk_f16 v95, v32, 0xb93d, v97
	v_add_f16_e32 v92, v96, v92
	v_fma_f16 v96, v32, 0xb93d, -v97
	v_add_f16_e32 v80, v84, v80
	v_fma_f16 v84, v32, 0x3abb, -v85
	;; [unrolled: 2-line block ×4, first 2 shown]
	v_add_f16_e32 v24, v21, v24
	v_fmamk_f16 v62, v12, 0x3b47, v30
	v_mul_f16_e32 v32, 0xb08e, v32
	v_add_f16_e32 v88, v89, v88
	v_mul_f16_e32 v89, 0xb482, v55
	v_add_f16_e32 v23, v57, v23
	v_add_f16_e32 v24, v62, v24
	v_fmamk_f16 v57, v54, 0x3beb, v32
	v_mul_f16_e32 v55, 0xb853, v55
	v_add_f16_e32 v37, v0, v37
	v_add_f16_e32 v27, v27, v21
	v_mul_f16_e32 v101, 0x3853, v59
	v_add_f16_e32 v24, v57, v24
	v_fmamk_f16 v57, v56, 0x3abb, v55
	v_mul_f16_e32 v59, 0xbb47, v59
	v_add_f16_e32 v37, v38, v37
	v_add_f16_e32 v13, v13, v27
	v_mul_f16_e32 v104, 0xba0c, v10
	;; [unrolled: 6-line block ×3, first 2 shown]
	v_add_f16_e32 v27, v62, v57
	v_fmamk_f16 v38, v34, 0xb08e, v10
	v_add_f16_e32 v36, v36, v37
	v_add_f16_e32 v8, v8, v13
	v_mul_f16_e32 v98, 0x3b47, v31
	v_mul_f16_e32 v105, 0xbbeb, v31
	v_add_f16_e32 v27, v38, v27
	v_fmamk_f16 v13, v66, 0xb93d, v14
	v_mul_f16_e32 v31, 0xb482, v31
	v_add_f16_e32 v11, v11, v36
	v_add_f16_e32 v4, v4, v8
	v_mul_f16_e32 v99, 0x3b47, v33
	v_add_f16_e32 v8, v13, v27
	v_fmamk_f16 v13, v72, 0xbbad, v31
	v_fmac_f16_e32 v74, 0xb08e, v56
	v_add_f16_e32 v11, v26, v11
	v_add_f16_e32 v4, v5, v4
	v_fma_f16 v100, v56, 0xbbad, -v89
	v_fmac_f16_e32 v89, 0xbbad, v56
	v_fmac_f16_e32 v86, 0xb93d, v56
	;; [unrolled: 1-line block ×3, first 2 shown]
	v_add_f16_e32 v5, v13, v8
	v_fma_f16 v8, v56, 0x3abb, -v55
	v_add_f16_e32 v94, v95, v94
	v_fmamk_f16 v95, v53, 0x36a6, v99
	v_add_f16_e32 v92, v96, v92
	v_fma_f16 v96, v53, 0x36a6, -v99
	v_add_f16_e32 v80, v84, v80
	v_fma_f16 v84, v53, 0xbbad, -v87
	v_add_f16_e32 v71, v0, v74
	v_fmac_f16_e32 v78, 0xbbad, v61
	v_add_f16_e32 v22, v70, v22
	v_fma_f16 v70, v53, 0x3abb, -v75
	v_fmac_f16_e32 v60, 0xbbad, v34
	v_mul_f16_e32 v53, 0xb93d, v53
	v_add_f16_e32 v11, v39, v11
	v_add_f16_e32 v4, v6, v4
	v_fma_f16 v102, v72, 0x36a6, -v98
	v_add_f16_e32 v100, v0, v100
	v_fma_f16 v103, v61, 0x3abb, -v101
	v_add_f16_e32 v89, v0, v89
	v_fmac_f16_e32 v101, 0x3abb, v61
	v_add_f16_e32 v85, v0, v86
	v_fmac_f16_e32 v90, 0xb08e, v61
	;; [unrolled: 2-line block ×3, first 2 shown]
	v_add_f16_e32 v0, v0, v8
	v_fma_f16 v8, v61, 0x36a6, -v59
	v_add_f16_e32 v71, v78, v71
	v_fmac_f16_e32 v79, 0x36a6, v34
	v_add_f16_e32 v35, v60, v35
	v_fmamk_f16 v60, v33, 0x3a0c, v53
	v_mul_f16_e32 v40, 0xbbad, v65
	v_add_f16_e32 v11, v41, v11
	v_add_f16_e32 v4, v7, v4
	;; [unrolled: 1-line block ×5, first 2 shown]
	v_fma_f16 v100, v34, 0xb93d, -v104
	v_mul_f16_e32 v102, 0x3b47, v64
	v_add_f16_e32 v89, v101, v89
	v_fmac_f16_e32 v104, 0xb93d, v34
	v_add_f16_e32 v85, v90, v85
	v_fmac_f16_e32 v91, 0x3abb, v34
	;; [unrolled: 2-line block ×3, first 2 shown]
	v_add_f16_e32 v0, v8, v0
	v_fma_f16 v7, v34, 0xb08e, -v10
	v_add_f16_e32 v22, v70, v22
	v_fma_f16 v69, v65, 0xb93d, -v69
	v_add_f16_e32 v70, v79, v71
	v_fmac_f16_e32 v81, 0x3abb, v66
	v_fmac_f16_e32 v67, 0xb08e, v66
	v_add_f16_e32 v24, v60, v24
	v_fmamk_f16 v37, v58, 0x3482, v40
	v_add_f16_e32 v8, v25, v11
	v_add_f16_e32 v2, v2, v4
	v_mul_f16_e32 v103, 0xbbeb, v58
	v_add_f16_e32 v95, v100, v95
	v_fma_f16 v100, v66, 0x36a6, -v102
	v_add_f16_e32 v89, v104, v89
	v_fmac_f16_e32 v102, 0x36a6, v66
	v_add_f16_e32 v80, v84, v80
	v_fma_f16 v83, v65, 0x36a6, -v83
	v_add_f16_e32 v84, v91, v85
	v_fmac_f16_e32 v93, 0xbbad, v66
	v_add_f16_e32 v4, v32, v6
	v_fmac_f16_e32 v53, 0xba0c, v33
	v_add_f16_e32 v0, v7, v0
	v_fma_f16 v6, v66, 0xb93d, -v14
	v_add_f16_e32 v22, v69, v22
	v_add_f16_e32 v69, v81, v70
	v_fmac_f16_e32 v77, 0xb93d, v72
	v_add_f16_e32 v35, v67, v35
	v_fmac_f16_e32 v73, 0x3abb, v72
	v_add_f16_e32 v24, v37, v24
	v_add_f16_e32 v3, v3, v8
	;; [unrolled: 1-line block ×4, first 2 shown]
	v_fma_f16 v100, v72, 0xb08e, -v105
	v_add_f16_e32 v92, v96, v92
	v_fma_f16 v96, v65, 0xb08e, -v103
	v_add_f16_e32 v89, v102, v89
	v_fmac_f16_e32 v105, 0xb08e, v72
	v_add_f16_e32 v80, v83, v80
	v_add_f16_e32 v83, v93, v84
	v_fmac_f16_e32 v98, 0x36a6, v72
	v_fmamk_f16 v97, v65, 0xb08e, v103
	v_add_f16_e32 v2, v53, v4
	v_fmac_f16_e32 v40, 0xb482, v58
	v_add_f16_e32 v0, v6, v0
	v_fma_f16 v4, v72, 0xbbad, -v31
	v_pack_b32_f16 v1, v3, v1
	v_pack_b32_f16 v3, v5, v24
	v_add_f16_e32 v5, v73, v35
	v_add_f16_e32 v6, v77, v69
	;; [unrolled: 1-line block ×9, first 2 shown]
	ds_write2_b32 v43, v1, v3 offset1:90
	v_pack_b32_f16 v1, v5, v23
	v_pack_b32_f16 v3, v6, v22
	v_add_nc_u32_e32 v4, 0x200, v43
	v_pack_b32_f16 v5, v29, v80
	v_pack_b32_f16 v6, v85, v86
	v_add_nc_u32_e32 v7, 0x400, v43
	;; [unrolled: 3-line block ×4, first 2 shown]
	v_pack_b32_f16 v0, v0, v2
	ds_write2_b32 v4, v1, v3 offset0:52 offset1:142
	ds_write2_b32 v7, v5, v6 offset0:104 offset1:194
	;; [unrolled: 1-line block ×4, first 2 shown]
	ds_write_b32 v43, v0 offset:3600
.LBB0_29:
	s_or_b32 exec_lo, exec_lo, s0
	s_waitcnt lgkmcnt(0)
	s_barrier
	buffer_gl0_inv
	ds_read2_b32 v[0:1], v43 offset1:110
	v_add_nc_u32_e32 v2, 0x600, v43
	v_mad_u64_u32 v[8:9], null, s10, v20, 0
	s_mov_b32 s12, 0xb37565e2
	s_mov_b32 s13, 0x3f508cab
	ds_read2_b32 v[2:3], v2 offset0:111 offset1:221
	s_waitcnt lgkmcnt(1)
	v_lshrrev_b32_e32 v4, 16, v0
	v_mul_f16_sdwa v5, v52, v0 dst_sel:DWORD dst_unused:UNUSED_PAD src0_sel:WORD_1 src1_sel:DWORD
	v_mul_f16_sdwa v6, v52, v4 dst_sel:DWORD dst_unused:UNUSED_PAD src0_sel:WORD_1 src1_sel:DWORD
	v_fma_f16 v4, v52, v4, -v5
	s_waitcnt lgkmcnt(0)
	v_lshrrev_b32_e32 v10, 16, v2
	v_mul_f16_sdwa v7, v51, v2 dst_sel:DWORD dst_unused:UNUSED_PAD src0_sel:WORD_1 src1_sel:DWORD
	v_fmac_f16_e32 v6, v52, v0
	v_cvt_f32_f16_e32 v0, v4
	v_mul_f16_sdwa v14, v51, v10 dst_sel:DWORD dst_unused:UNUSED_PAD src0_sel:WORD_1 src1_sel:DWORD
	v_cvt_f32_f16_e32 v6, v6
	v_cvt_f64_f32_e32 v[4:5], v0
	v_fma_f16 v0, v51, v10, -v7
	v_mad_u64_u32 v[10:11], null, s8, v49, 0
	v_cvt_f64_f32_e32 v[6:7], v6
	v_fmac_f16_e32 v14, v51, v2
	v_cvt_f32_f16_e32 v0, v0
	v_mov_b32_e32 v2, v11
	v_cvt_f64_f32_e32 v[12:13], v0
	v_mov_b32_e32 v0, v9
	v_cvt_f32_f16_e32 v9, v14
	v_mad_u64_u32 v[22:23], null, s9, v49, v[2:3]
	v_mad_u64_u32 v[14:15], null, s11, v20, v[0:1]
	v_lshrrev_b32_e32 v15, 16, v1
	v_cvt_f64_f32_e32 v[20:21], v9
	v_mul_f64 v[4:5], v[4:5], s[12:13]
	v_mov_b32_e32 v11, v22
	v_mul_f16_sdwa v2, v50, v15 dst_sel:DWORD dst_unused:UNUSED_PAD src0_sel:WORD_1 src1_sel:DWORD
	v_mov_b32_e32 v9, v14
	v_mul_f64 v[6:7], v[6:7], s[12:13]
	v_mul_f16_sdwa v14, v50, v1 dst_sel:DWORD dst_unused:UNUSED_PAD src0_sel:WORD_1 src1_sel:DWORD
	v_fmac_f16_e32 v2, v50, v1
	v_lshlrev_b64 v[0:1], 2, v[8:9]
	v_fma_f16 v14, v50, v15, -v14
	v_mul_f64 v[8:9], v[12:13], s[12:13]
	v_cvt_f32_f16_e32 v2, v2
	v_add_co_u32 v15, s0, s6, v0
	v_add_co_ci_u32_e64 v22, s0, s7, v1, s0
	v_cvt_f64_f32_e32 v[0:1], v2
	v_mul_f64 v[12:13], v[20:21], s[12:13]
	v_and_or_b32 v2, 0x1ff, v5, v4
	v_lshrrev_b32_e32 v4, 8, v5
	v_bfe_u32 v20, v5, 20, 11
	v_lshrrev_b32_e32 v5, 16, v5
	v_and_or_b32 v6, 0x1ff, v7, v6
	v_cmp_ne_u32_e64 s0, 0, v2
	v_lshrrev_b32_e32 v21, 8, v7
	v_bfe_u32 v23, v7, 20, 11
	v_sub_nc_u32_e32 v24, 0x3f1, v20
	v_add_nc_u32_e32 v20, 0xfffffc10, v20
	v_cndmask_b32_e64 v2, 0, 1, s0
	v_and_or_b32 v8, 0x1ff, v9, v8
	v_cmp_ne_u32_e64 s0, 0, v6
	v_bfe_u32 v26, v9, 20, 11
	v_lshrrev_b32_e32 v25, 8, v9
	v_sub_nc_u32_e32 v27, 0x3f1, v23
	v_and_or_b32 v2, 0xffe, v4, v2
	v_cndmask_b32_e64 v6, 0, 1, s0
	v_cmp_ne_u32_e64 s0, 0, v8
	v_sub_nc_u32_e32 v29, 0x3f1, v26
	v_and_or_b32 v12, 0x1ff, v13, v12
	v_med3_i32 v4, v24, 0, 13
	v_and_or_b32 v6, 0xffe, v21, v6
	v_cndmask_b32_e64 v8, 0, 1, s0
	v_med3_i32 v21, v27, 0, 13
	v_cmp_ne_u32_e64 s0, 0, v2
	v_or_b32_e32 v27, 0x1000, v2
	v_lshl_or_b32 v30, v20, 12, v2
	v_and_or_b32 v8, 0xffe, v25, v8
	v_med3_i32 v25, v29, 0, 13
	v_or_b32_e32 v29, 0x1000, v6
	v_cndmask_b32_e64 v2, 0, 1, s0
	v_cmp_ne_u32_e64 s0, 0, v12
	v_add_nc_u32_e32 v23, 0xfffffc10, v23
	v_lshrrev_b32_e32 v33, v4, v27
	v_lshrrev_b32_e32 v34, v21, v29
	;; [unrolled: 1-line block ×3, first 2 shown]
	v_cndmask_b32_e64 v12, 0, 1, s0
	v_cmp_ne_u32_e64 s0, 0, v6
	v_bfe_u32 v28, v13, 20, 11
	v_lshlrev_b32_e32 v21, v21, v34
	v_lshl_or_b32 v32, v23, 12, v6
	v_lshlrev_b32_e32 v4, v4, v33
	v_cndmask_b32_e64 v6, 0, 1, s0
	v_sub_nc_u32_e32 v31, 0x3f1, v28
	v_cmp_ne_u32_e64 s0, v21, v29
	v_and_or_b32 v12, 0xffe, v24, v12
	v_add_nc_u32_e32 v28, 0xfffffc10, v28
	v_lshl_or_b32 v6, v6, 9, 0x7c00
	v_med3_i32 v24, v31, 0, 13
	v_cndmask_b32_e64 v21, 0, 1, s0
	v_cmp_ne_u32_e64 s0, v4, v27
	v_or_b32_e32 v36, 0x1000, v12
	v_or_b32_e32 v31, 0x1000, v8
	v_lshl_or_b32 v29, v28, 12, v12
	v_or_b32_e32 v21, v34, v21
	v_cndmask_b32_e64 v4, 0, 1, s0
	v_cmp_gt_i32_e64 s0, 1, v23
	v_lshrrev_b32_e32 v27, v24, v36
	v_lshrrev_b32_e32 v34, v25, v31
	v_cmp_gt_i32_e64 s4, 1, v28
	v_or_b32_e32 v4, v33, v4
	v_cndmask_b32_e64 v21, v32, v21, s0
	v_cmp_gt_i32_e64 s0, 1, v20
	v_lshlrev_b32_e32 v24, v24, v27
	v_lshlrev_b32_e32 v25, v25, v34
	v_lshl_or_b32 v2, v2, 9, 0x7c00
	v_lshrrev_b32_e32 v7, 16, v7
	v_cndmask_b32_e64 v4, v30, v4, s0
	v_cmp_ne_u32_e64 s0, v24, v36
	v_and_b32_e32 v30, 7, v21
	v_lshrrev_b32_e32 v21, 2, v21
	v_add_nc_u32_e32 v26, 0xfffffc10, v26
	v_and_b32_e32 v32, 7, v4
	v_cndmask_b32_e64 v24, 0, 1, s0
	v_cmp_lt_i32_e64 s0, 5, v30
	v_cmp_eq_u32_e64 s1, 3, v30
	v_lshrrev_b32_e32 v4, 2, v4
	v_cmp_lt_i32_e64 s2, 5, v32
	v_cmp_eq_u32_e64 s3, 3, v32
	v_or_b32_e32 v24, v27, v24
	s_or_b32 s0, s1, s0
	v_lshl_or_b32 v35, v26, 12, v8
	v_add_co_ci_u32_e64 v21, s0, 0, v21, s0
	s_or_b32 s0, s3, s2
	v_cndmask_b32_e64 v24, v29, v24, s4
	v_add_co_ci_u32_e64 v4, s0, 0, v4, s0
	v_cmp_gt_i32_e64 s0, 31, v23
	v_mul_f64 v[0:1], v[0:1], s[12:13]
	v_and_b32_e32 v27, 7, v24
	v_cmp_eq_u32_e64 s2, 0x40f, v28
	v_lshrrev_b32_e32 v9, 16, v9
	v_cndmask_b32_e64 v21, 0x7c00, v21, s0
	v_cmp_gt_i32_e64 s0, 31, v20
	v_cmp_eq_u32_e64 s1, 3, v27
	v_cndmask_b32_e64 v4, 0x7c00, v4, s0
	v_cmp_eq_u32_e64 s0, 0x40f, v23
	v_cndmask_b32_e64 v6, v21, v6, s0
	v_cmp_ne_u32_e64 s0, v25, v31
	v_cndmask_b32_e64 v21, 0, 1, s0
	v_cmp_eq_u32_e64 s0, 0x40f, v20
	v_and_or_b32 v0, 0x1ff, v1, v0
	v_cndmask_b32_e64 v2, v4, v2, s0
	v_cmp_lt_i32_e64 s0, 5, v27
	v_and_or_b32 v4, 0x8000, v7, v6
	v_lshrrev_b32_e32 v6, 2, v24
	v_and_or_b32 v2, 0x8000, v5, v2
	s_or_b32 s0, s1, s0
	v_and_b32_e32 v4, 0xffff, v4
	v_add_co_ci_u32_e64 v20, s0, 0, v6, s0
	v_cmp_ne_u32_e64 s0, 0, v12
	v_or_b32_e32 v5, v34, v21
	v_lshl_or_b32 v2, v2, 16, v4
	v_cvt_f32_f16_e32 v4, v14
	v_lshlrev_b64 v[6:7], 2, v[10:11]
	v_cndmask_b32_e64 v12, 0, 1, s0
	v_cmp_gt_i32_e64 s0, 1, v26
	v_lshl_or_b32 v11, v12, 9, 0x7c00
	v_cndmask_b32_e64 v14, v35, v5, s0
	v_cvt_f64_f32_e32 v[4:5], v4
	v_cmp_gt_i32_e64 s0, 31, v28
	v_and_b32_e32 v12, 7, v14
	v_cndmask_b32_e64 v10, 0x7c00, v20, s0
	v_add_co_u32 v6, s0, v15, v6
	v_add_co_ci_u32_e64 v7, s0, v22, v7, s0
	v_cmp_lt_i32_e64 s0, 5, v12
	v_cmp_eq_u32_e64 s1, 3, v12
	v_cndmask_b32_e64 v10, v10, v11, s2
	v_lshrrev_b32_e32 v11, 2, v14
	v_lshrrev_b32_e32 v12, 16, v13
	;; [unrolled: 1-line block ×3, first 2 shown]
	s_or_b32 s0, s1, s0
	v_bfe_u32 v14, v1, 20, 11
	v_add_co_ci_u32_e64 v11, s0, 0, v11, s0
	v_cmp_ne_u32_e64 s0, 0, v8
	v_mul_f64 v[4:5], v[4:5], s[12:13]
	v_and_or_b32 v10, 0x8000, v12, v10
	v_sub_nc_u32_e32 v12, 0x3f1, v14
	v_lshrrev_b32_e32 v15, 16, v3
	v_cndmask_b32_e64 v8, 0, 1, s0
	v_cmp_ne_u32_e64 s0, 0, v0
	s_mul_hi_u32 s1, s8, 0x1ef
	v_med3_i32 v12, v12, 0, 13
	v_add_nc_u32_e32 v14, 0xfffffc10, v14
	v_lshl_or_b32 v8, v8, 9, 0x7c00
	v_cndmask_b32_e64 v0, 0, 1, s0
	v_cmp_gt_i32_e64 s0, 31, v26
	v_and_b32_e32 v10, 0xffff, v10
	s_mul_i32 s2, s8, 0x1ef
	global_store_dword v[6:7], v2, off
	v_and_or_b32 v0, 0xffe, v13, v0
	v_cndmask_b32_e64 v11, 0x7c00, v11, s0
	v_cmp_eq_u32_e64 s0, 0x40f, v26
	v_lshl_or_b32 v22, v14, 12, v0
	v_cndmask_b32_e64 v8, v11, v8, s0
	v_or_b32_e32 v11, 0x1000, v0
	v_and_or_b32 v4, 0x1ff, v5, v4
	s_mul_i32 s0, s9, 0x1ef
	v_lshrrev_b32_e32 v20, 8, v5
	v_and_or_b32 v13, 0x8000, v9, v8
	v_lshrrev_b32_e32 v8, v12, v11
	s_add_i32 s3, s1, s0
	v_cmp_ne_u32_e64 s0, 0, v4
	v_bfe_u32 v21, v5, 20, 11
	s_lshl_b64 s[10:11], s[2:3], 2
	v_lshlrev_b32_e32 v9, v12, v8
	v_mul_f16_sdwa v12, v48, v15 dst_sel:DWORD dst_unused:UNUSED_PAD src0_sel:WORD_1 src1_sel:DWORD
	v_cndmask_b32_e64 v4, 0, 1, s0
	v_lshl_or_b32 v13, v13, 16, v10
	v_lshrrev_b32_e32 v5, 16, v5
	v_cmp_ne_u32_e64 s0, v9, v11
	v_fmac_f16_e32 v12, v48, v3
	v_and_or_b32 v4, 0xffe, v20, v4
	v_mul_f16_sdwa v3, v48, v3 dst_sel:DWORD dst_unused:UNUSED_PAD src0_sel:WORD_1 src1_sel:DWORD
	v_cndmask_b32_e64 v9, 0, 1, s0
	v_cvt_f32_f16_e32 v11, v12
	v_sub_nc_u32_e32 v12, 0x3f1, v21
	v_cmp_gt_i32_e64 s0, 1, v14
	v_or_b32_e32 v23, 0x1000, v4
	v_or_b32_e32 v20, v8, v9
	v_cvt_f64_f32_e32 v[8:9], v11
	v_med3_i32 v12, v12, 0, 13
	v_fma_f16 v3, v48, v15, -v3
	v_add_nc_u32_e32 v15, 0x200, v43
	v_cndmask_b32_e64 v20, v22, v20, s0
	v_add_co_u32 v10, s0, v6, s10
	v_lshrrev_b32_e32 v22, v12, v23
	v_add_co_ci_u32_e64 v11, s0, s11, v7, s0
	v_and_b32_e32 v24, 7, v20
	v_lshlrev_b32_e32 v2, v12, v22
	v_lshrrev_b32_e32 v12, 2, v20
	global_store_dword v[10:11], v13, off
	v_cmp_lt_i32_e64 s0, 5, v24
	v_cmp_eq_u32_e64 s1, 3, v24
	v_cmp_ne_u32_e64 s2, v2, v23
	v_add_nc_u32_e32 v13, 0xfffffc10, v21
	s_or_b32 s0, s1, s0
	v_mul_f64 v[6:7], v[8:9], s[12:13]
	v_add_co_ci_u32_e64 v8, s0, 0, v12, s0
	v_cndmask_b32_e64 v2, 0, 1, s2
	v_cmp_ne_u32_e64 s0, 0, v0
	v_lshl_or_b32 v9, v13, 12, v4
	v_or_b32_e32 v2, v22, v2
	v_cndmask_b32_e64 v0, 0, 1, s0
	v_cmp_gt_i32_e64 s0, 1, v13
	v_lshl_or_b32 v0, v0, 9, 0x7c00
	v_cndmask_b32_e64 v9, v9, v2, s0
	v_cvt_f32_f16_e32 v2, v3
	v_cmp_gt_i32_e64 s0, 31, v14
	v_and_b32_e32 v12, 7, v9
	v_cvt_f64_f32_e32 v[2:3], v2
	v_cndmask_b32_e64 v8, 0x7c00, v8, s0
	v_cmp_eq_u32_e64 s0, 0x40f, v14
	v_and_or_b32 v6, 0x1ff, v7, v6
	v_lshrrev_b32_e32 v14, 16, v1
	v_cmp_eq_u32_e64 s1, 3, v12
	v_lshrrev_b32_e32 v9, 2, v9
	v_cndmask_b32_e64 v8, v8, v0, s0
	ds_read2_b32 v[0:1], v15 offset0:92 offset1:202
	v_cmp_lt_i32_e64 s0, 5, v12
	v_cmp_ne_u32_e64 s2, 0, v6
	v_lshrrev_b32_e32 v12, 8, v7
	v_bfe_u32 v15, v7, 20, 11
	v_and_or_b32 v8, 0x8000, v14, v8
	s_or_b32 s0, s1, s0
	v_cndmask_b32_e64 v6, 0, 1, s2
	v_add_co_ci_u32_e64 v9, s0, 0, v9, s0
	v_cmp_ne_u32_e64 s0, 0, v4
	s_mul_hi_u32 s1, s8, 0xfffffe7f
	v_and_or_b32 v6, 0xffe, v12, v6
	v_sub_nc_u32_e32 v12, 0x3f1, v15
	v_mul_f64 v[2:3], v[2:3], s[12:13]
	v_cndmask_b32_e64 v4, 0, 1, s0
	v_cmp_gt_i32_e64 s0, 31, v13
	v_or_b32_e32 v20, 0x1000, v6
	v_med3_i32 v12, v12, 0, 13
	s_sub_i32 s1, s1, s8
	v_lshl_or_b32 v4, v4, 9, 0x7c00
	v_cndmask_b32_e64 v9, 0x7c00, v9, s0
	s_waitcnt lgkmcnt(0)
	v_lshrrev_b32_e32 v21, 16, v0
	v_cmp_eq_u32_e64 s0, 0x40f, v13
	v_lshrrev_b32_e32 v13, v12, v20
	v_add_nc_u32_e32 v15, 0xfffffc10, v15
	v_and_b32_e32 v8, 0xffff, v8
	s_mul_i32 s2, s8, 0xfffffe7f
	v_cndmask_b32_e64 v4, v9, v4, s0
	v_mul_f16_sdwa v9, v47, v21 dst_sel:DWORD dst_unused:UNUSED_PAD src0_sel:WORD_1 src1_sel:DWORD
	v_lshlrev_b32_e32 v12, v12, v13
	s_mul_i32 s0, s9, 0xfffffe7f
	s_add_i32 s3, s1, s0
	v_fmac_f16_e32 v9, v47, v0
	v_cmp_ne_u32_e64 s0, v12, v20
	v_and_or_b32 v2, 0x1ff, v3, v2
	v_and_or_b32 v14, 0x8000, v5, v4
	v_lshl_or_b32 v12, v15, 12, v6
	v_cvt_f32_f16_e32 v4, v9
	v_cndmask_b32_e64 v9, 0, 1, s0
	v_cmp_ne_u32_e64 s0, 0, v2
	v_bfe_u32 v20, v3, 20, 11
	s_lshl_b64 s[8:9], s[2:3], 2
	v_cvt_f64_f32_e32 v[4:5], v4
	v_or_b32_e32 v9, v13, v9
	v_cndmask_b32_e64 v2, 0, 1, s0
	v_lshrrev_b32_e32 v13, 8, v3
	v_cmp_gt_i32_e64 s0, 1, v15
	v_mul_f16_sdwa v0, v47, v0 dst_sel:DWORD dst_unused:UNUSED_PAD src0_sel:WORD_1 src1_sel:DWORD
	v_lshrrev_b32_e32 v3, 16, v3
	v_and_or_b32 v2, 0xffe, v13, v2
	v_cndmask_b32_e64 v12, v12, v9, s0
	v_sub_nc_u32_e32 v9, 0x3f1, v20
	v_lshl_or_b32 v13, v14, 16, v8
	v_add_co_u32 v8, s0, v10, s8
	v_or_b32_e32 v22, 0x1000, v2
	v_med3_i32 v23, v9, 0, 13
	v_and_b32_e32 v14, 7, v12
	v_add_co_ci_u32_e64 v9, s0, s9, v11, s0
	v_lshrrev_b32_e32 v10, 2, v12
	v_lshrrev_b32_e32 v24, v23, v22
	v_cmp_lt_i32_e64 s0, 5, v14
	v_cmp_eq_u32_e64 s1, 3, v14
	v_mul_f64 v[4:5], v[4:5], s[12:13]
	v_fma_f16 v0, v47, v21, -v0
	v_lshlrev_b32_e32 v11, v23, v24
	v_add_nc_u32_e32 v20, 0xfffffc10, v20
	s_or_b32 s0, s1, s0
	global_store_dword v[8:9], v13, off
	v_add_co_ci_u32_e64 v14, s0, 0, v10, s0
	v_cmp_ne_u32_e64 s0, v11, v22
	v_add_nc_u32_e32 v10, 0xa00, v43
	v_cvt_f32_f16_e32 v0, v0
	v_add_co_u32 v8, s2, v8, s10
	v_cndmask_b32_e64 v21, 0, 1, s0
	v_cmp_ne_u32_e64 s0, 0, v6
	ds_read2_b32 v[10:11], v10 offset0:75 offset1:185
	v_cvt_f64_f32_e32 v[12:13], v0
	v_add_co_ci_u32_e64 v9, s2, s11, v9, s2
	v_cndmask_b32_e64 v6, 0, 1, s0
	v_cmp_gt_i32_e64 s0, 31, v15
	v_or_b32_e32 v0, v24, v21
	v_lshl_or_b32 v21, v20, 12, v2
	v_and_or_b32 v4, 0x1ff, v5, v4
	v_bfe_u32 v22, v5, 20, 11
	v_cndmask_b32_e64 v14, 0x7c00, v14, s0
	v_cmp_gt_i32_e64 s0, 1, v20
	v_lshl_or_b32 v6, v6, 9, 0x7c00
	v_sub_nc_u32_e32 v23, 0x3f1, v22
	v_add_nc_u32_e32 v22, 0xfffffc10, v22
	v_cndmask_b32_e64 v0, v21, v0, s0
	v_cmp_ne_u32_e64 s0, 0, v4
	v_lshrrev_b32_e32 v21, 8, v5
	v_lshrrev_b32_e32 v5, 16, v5
	s_waitcnt lgkmcnt(0)
	v_lshrrev_b32_e32 v24, 16, v10
	v_cndmask_b32_e64 v4, 0, 1, s0
	v_cmp_eq_u32_e64 s0, 0x40f, v15
	v_and_b32_e32 v15, 7, v0
	v_lshrrev_b32_e32 v0, 2, v0
	v_and_or_b32 v4, 0xffe, v21, v4
	v_cndmask_b32_e64 v14, v14, v6, s0
	v_cmp_lt_i32_e64 s0, 5, v15
	v_cmp_eq_u32_e64 s1, 3, v15
	v_lshrrev_b32_e32 v21, 16, v7
	v_mul_f64 v[6:7], v[12:13], s[12:13]
	v_or_b32_e32 v25, 0x1000, v4
	v_med3_i32 v12, v23, 0, 13
	v_mul_f16_sdwa v13, v46, v24 dst_sel:DWORD dst_unused:UNUSED_PAD src0_sel:WORD_1 src1_sel:DWORD
	s_or_b32 s0, s1, s0
	v_and_or_b32 v14, 0x8000, v21, v14
	v_add_co_ci_u32_e64 v0, s0, 0, v0, s0
	v_lshrrev_b32_e32 v15, v12, v25
	v_cmp_ne_u32_e64 s0, 0, v2
	v_fmac_f16_e32 v13, v46, v10
	v_and_b32_e32 v14, 0xffff, v14
	v_mul_f16_sdwa v10, v46, v10 dst_sel:DWORD dst_unused:UNUSED_PAD src0_sel:WORD_1 src1_sel:DWORD
	v_lshlrev_b32_e32 v21, v12, v15
	v_cndmask_b32_e64 v2, 0, 1, s0
	v_cmp_gt_i32_e64 s0, 31, v20
	v_cvt_f32_f16_e32 v13, v13
	v_fma_f16 v10, v46, v24, -v10
	v_lshl_or_b32 v2, v2, 9, 0x7c00
	v_cndmask_b32_e64 v0, 0x7c00, v0, s0
	v_cmp_ne_u32_e64 s0, v21, v25
	v_cvt_f64_f32_e32 v[12:13], v13
	v_and_or_b32 v6, 0x1ff, v7, v6
	v_cvt_f32_f16_e32 v10, v10
	v_cndmask_b32_e64 v21, 0, 1, s0
	v_cmp_eq_u32_e64 s0, 0x40f, v20
	v_lshrrev_b32_e32 v20, 8, v7
	v_cndmask_b32_e64 v0, v0, v2, s0
	v_cmp_ne_u32_e64 s0, 0, v6
	v_or_b32_e32 v2, v15, v21
	v_bfe_u32 v21, v7, 20, 11
	v_lshl_or_b32 v15, v22, 12, v4
	v_and_or_b32 v0, 0x8000, v3, v0
	v_cndmask_b32_e64 v6, 0, 1, s0
	v_cmp_gt_i32_e64 s0, 1, v22
	v_lshrrev_b32_e32 v7, 16, v7
	v_lshl_or_b32 v14, v0, 16, v14
	v_and_or_b32 v6, 0xffe, v20, v6
	v_sub_nc_u32_e32 v20, 0x3f1, v21
	v_cndmask_b32_e64 v15, v15, v2, s0
	v_mul_f64 v[2:3], v[12:13], s[12:13]
	v_or_b32_e32 v25, 0x1000, v6
	v_med3_i32 v12, v20, 0, 13
	v_and_b32_e32 v23, 7, v15
	v_lshrrev_b32_e32 v13, 2, v15
	v_lshrrev_b32_e32 v0, v12, v25
	v_cmp_lt_i32_e64 s0, 5, v23
	v_cmp_eq_u32_e64 s1, 3, v23
	v_lshlrev_b32_e32 v12, v12, v0
	s_or_b32 s0, s1, s0
	v_add_co_ci_u32_e64 v15, s0, 0, v13, s0
	v_cmp_ne_u32_e64 s0, v12, v25
	v_cvt_f64_f32_e32 v[12:13], v10
	v_add_nc_u32_e32 v10, 0xfffffc10, v21
	v_and_or_b32 v2, 0x1ff, v3, v2
	v_lshrrev_b32_e32 v21, 8, v3
	v_cndmask_b32_e64 v20, 0, 1, s0
	v_cmp_gt_i32_e64 s0, 31, v22
	v_bfe_u32 v23, v3, 20, 11
	v_or_b32_e32 v0, v0, v20
	v_cndmask_b32_e64 v15, 0x7c00, v15, s0
	v_cmp_ne_u32_e64 s0, 0, v2
	v_lshl_or_b32 v20, v10, 12, v6
	v_cndmask_b32_e64 v2, 0, 1, s0
	v_cmp_ne_u32_e64 s0, 0, v4
	v_and_or_b32 v2, 0xffe, v21, v2
	v_cndmask_b32_e64 v4, 0, 1, s0
	v_cmp_gt_i32_e64 s0, 1, v10
	v_lshrrev_b32_e32 v21, 16, v1
	v_mul_f64 v[12:13], v[12:13], s[12:13]
	v_or_b32_e32 v25, 0x1000, v2
	v_lshl_or_b32 v4, v4, 9, 0x7c00
	v_cndmask_b32_e64 v0, v20, v0, s0
	v_sub_nc_u32_e32 v20, 0x3f1, v23
	v_cmp_eq_u32_e64 s0, 0x40f, v22
	v_mul_f16_sdwa v26, v45, v21 dst_sel:DWORD dst_unused:UNUSED_PAD src0_sel:WORD_1 src1_sel:DWORD
	v_add_nc_u32_e32 v23, 0xfffffc10, v23
	v_and_b32_e32 v24, 7, v0
	v_med3_i32 v20, v20, 0, 13
	v_cndmask_b32_e64 v4, v15, v4, s0
	v_lshrrev_b32_e32 v0, 2, v0
	v_fmac_f16_e32 v26, v45, v1
	v_cmp_lt_i32_e64 s0, 5, v24
	v_lshrrev_b32_e32 v15, v20, v25
	v_cmp_eq_u32_e64 s1, 3, v24
	v_and_or_b32 v22, 0x8000, v5, v4
	v_cvt_f32_f16_e32 v5, v26
	v_mul_f16_sdwa v1, v45, v1 dst_sel:DWORD dst_unused:UNUSED_PAD src0_sel:WORD_1 src1_sel:DWORD
	v_lshlrev_b32_e32 v4, v20, v15
	s_or_b32 s0, s1, s0
	v_add_co_ci_u32_e64 v0, s0, 0, v0, s0
	v_cmp_ne_u32_e64 s0, v4, v25
	v_cvt_f64_f32_e32 v[4:5], v5
	v_and_or_b32 v12, 0x1ff, v13, v12
	v_bfe_u32 v24, v13, 20, 11
	v_fma_f16 v1, v45, v21, -v1
	v_cndmask_b32_e64 v20, 0, 1, s0
	v_cmp_ne_u32_e64 s0, 0, v6
	v_or_b32_e32 v15, v15, v20
	v_cndmask_b32_e64 v6, 0, 1, s0
	v_cmp_gt_i32_e64 s0, 31, v10
	v_lshl_or_b32 v20, v23, 12, v2
	v_lshl_or_b32 v6, v6, 9, 0x7c00
	v_cndmask_b32_e64 v0, 0x7c00, v0, s0
	v_cmp_gt_i32_e64 s0, 1, v23
	v_cndmask_b32_e64 v15, v20, v15, s0
	v_cmp_ne_u32_e64 s0, 0, v12
	v_lshrrev_b32_e32 v20, 8, v13
	v_mul_f64 v[4:5], v[4:5], s[12:13]
	v_lshrrev_b32_e32 v13, 16, v13
	v_and_b32_e32 v25, 7, v15
	v_cndmask_b32_e64 v12, 0, 1, s0
	v_cmp_eq_u32_e64 s0, 0x40f, v10
	v_cmp_eq_u32_e64 s1, 3, v25
	v_and_or_b32 v10, 0xffe, v20, v12
	v_cndmask_b32_e64 v0, v0, v6, s0
	v_sub_nc_u32_e32 v6, 0x3f1, v24
	v_cmp_lt_i32_e64 s0, 5, v25
	v_or_b32_e32 v12, 0x1000, v10
	v_and_or_b32 v0, 0x8000, v7, v0
	v_lshrrev_b32_e32 v7, 2, v15
	v_med3_i32 v6, v6, 0, 13
	s_or_b32 s0, s1, s0
	v_and_b32_e32 v15, 0xffff, v22
	v_lshrrev_b32_e32 v22, 16, v3
	v_add_co_ci_u32_e64 v7, s0, 0, v7, s0
	v_lshrrev_b32_e32 v20, v6, v12
	v_cmp_ne_u32_e64 s0, 0, v2
	v_lshl_or_b32 v15, v0, 16, v15
	v_and_or_b32 v4, 0x1ff, v5, v4
	v_bfe_u32 v21, v5, 20, 11
	v_lshlrev_b32_e32 v0, v6, v20
	v_cndmask_b32_e64 v2, 0, 1, s0
	v_cmp_gt_i32_e64 s0, 31, v23
	v_lshl_or_b32 v2, v2, 9, 0x7c00
	v_cndmask_b32_e64 v6, 0x7c00, v7, s0
	v_cmp_ne_u32_e64 s0, v0, v12
	v_add_nc_u32_e32 v12, 0xfffffc10, v24
	v_cndmask_b32_e64 v0, 0, 1, s0
	v_cmp_eq_u32_e64 s0, 0x40f, v23
	v_lshl_or_b32 v7, v12, 12, v10
	v_cndmask_b32_e64 v6, v6, v2, s0
	v_cmp_ne_u32_e64 s0, 0, v4
	v_or_b32_e32 v2, v20, v0
	v_cvt_f32_f16_e32 v0, v1
	v_lshrrev_b32_e32 v20, 8, v5
	v_and_or_b32 v22, 0x8000, v22, v6
	v_cndmask_b32_e64 v4, 0, 1, s0
	v_cmp_gt_i32_e64 s0, 1, v12
	v_cvt_f64_f32_e32 v[0:1], v0
	v_lshrrev_b32_e32 v5, 16, v5
	v_and_or_b32 v4, 0xffe, v20, v4
	v_cndmask_b32_e64 v7, v7, v2, s0
	v_sub_nc_u32_e32 v2, 0x3f1, v21
	v_lshrrev_b32_e32 v20, 16, v11
	v_add_nc_u32_e32 v21, 0xfffffc10, v21
	v_or_b32_e32 v24, 0x1000, v4
	v_and_b32_e32 v23, 7, v7
	v_med3_i32 v25, v2, 0, 13
	v_mul_f16_sdwa v26, v44, v20 dst_sel:DWORD dst_unused:UNUSED_PAD src0_sel:WORD_1 src1_sel:DWORD
	v_add_co_u32 v2, s0, v8, s8
	v_add_co_ci_u32_e64 v3, s0, s9, v9, s0
	v_lshrrev_b32_e32 v27, v25, v24
	v_fmac_f16_e32 v26, v44, v11
	v_cmp_lt_i32_e64 s0, 5, v23
	v_cmp_eq_u32_e64 s1, 3, v23
	v_lshrrev_b32_e32 v6, 2, v7
	v_lshlrev_b32_e32 v23, v25, v27
	v_cvt_f32_f16_e32 v7, v26
	v_mul_f64 v[0:1], v[0:1], s[12:13]
	s_or_b32 s0, s1, s0
	v_mul_f16_sdwa v11, v44, v11 dst_sel:DWORD dst_unused:UNUSED_PAD src0_sel:WORD_1 src1_sel:DWORD
	v_add_co_ci_u32_e64 v25, s0, 0, v6, s0
	v_cmp_ne_u32_e64 s0, v23, v24
	v_cvt_f64_f32_e32 v[6:7], v7
	v_lshl_or_b32 v24, v21, 12, v4
	v_fma_f16 v11, v44, v20, -v11
	v_cndmask_b32_e64 v23, 0, 1, s0
	v_cmp_ne_u32_e64 s0, 0, v10
	v_cvt_f32_f16_e32 v11, v11
	v_or_b32_e32 v23, v27, v23
	v_cndmask_b32_e64 v10, 0, 1, s0
	v_cmp_gt_i32_e64 s0, 31, v12
	v_lshl_or_b32 v10, v10, 9, 0x7c00
	v_cndmask_b32_e64 v20, 0x7c00, v25, s0
	v_cmp_gt_i32_e64 s0, 1, v21
	v_and_or_b32 v0, 0x1ff, v1, v0
	v_bfe_u32 v25, v1, 20, 11
	v_cndmask_b32_e64 v23, v24, v23, s0
	v_cmp_eq_u32_e64 s0, 0x40f, v12
	v_mul_f64 v[6:7], v[6:7], s[12:13]
	v_lshrrev_b32_e32 v24, 8, v1
	v_lshrrev_b32_e32 v1, 16, v1
	v_cndmask_b32_e64 v12, v20, v10, s0
	v_cvt_f64_f32_e32 v[10:11], v11
	v_cmp_ne_u32_e64 s0, 0, v0
	v_and_b32_e32 v20, 7, v23
	v_and_or_b32 v12, 0x8000, v13, v12
	v_and_b32_e32 v13, 0xffff, v22
	v_cndmask_b32_e64 v0, 0, 1, s0
	v_cmp_lt_i32_e64 s0, 5, v20
	v_cmp_eq_u32_e64 s1, 3, v20
	v_sub_nc_u32_e32 v22, 0x3f1, v25
	v_lshl_or_b32 v12, v12, 16, v13
	v_lshrrev_b32_e32 v13, 2, v23
	v_and_or_b32 v0, 0xffe, v24, v0
	s_or_b32 s0, s1, s0
	v_med3_i32 v22, v22, 0, 13
	v_add_co_ci_u32_e64 v13, s0, 0, v13, s0
	v_or_b32_e32 v20, 0x1000, v0
	v_cmp_ne_u32_e64 s0, 0, v4
	v_and_or_b32 v6, 0x1ff, v7, v6
	v_lshrrev_b32_e32 v24, 8, v7
	v_mul_f64 v[10:11], v[10:11], s[12:13]
	v_lshrrev_b32_e32 v23, v22, v20
	v_cndmask_b32_e64 v4, 0, 1, s0
	v_cmp_gt_i32_e64 s0, 31, v21
	v_bfe_u32 v26, v7, 20, 11
	v_lshrrev_b32_e32 v7, 16, v7
	v_lshlrev_b32_e32 v22, v22, v23
	v_lshl_or_b32 v4, v4, 9, 0x7c00
	v_cndmask_b32_e64 v13, 0x7c00, v13, s0
	v_cmp_ne_u32_e64 s0, 0, v6
	v_cndmask_b32_e64 v6, 0, 1, s0
	v_cmp_ne_u32_e64 s0, v22, v20
	v_add_nc_u32_e32 v22, 0xfffffc10, v25
	v_and_or_b32 v6, 0xffe, v24, v6
	v_cndmask_b32_e64 v20, 0, 1, s0
	v_sub_nc_u32_e32 v24, 0x3f1, v26
	v_cmp_eq_u32_e64 s0, 0x40f, v21
	v_and_or_b32 v10, 0x1ff, v11, v10
	v_or_b32_e32 v21, 0x1000, v6
	v_bfe_u32 v25, v11, 20, 11
	v_cndmask_b32_e64 v4, v13, v4, s0
	v_or_b32_e32 v13, v23, v20
	v_lshl_or_b32 v20, v22, 12, v0
	v_med3_i32 v23, v24, 0, 13
	v_cmp_gt_i32_e64 s0, 1, v22
	v_lshrrev_b32_e32 v24, 8, v11
	v_and_or_b32 v4, 0x8000, v5, v4
	v_cndmask_b32_e64 v13, v20, v13, s0
	v_lshrrev_b32_e32 v20, v23, v21
	v_cmp_ne_u32_e64 s0, 0, v10
	v_and_b32_e32 v27, 7, v13
	v_lshlrev_b32_e32 v23, v23, v20
	v_cndmask_b32_e64 v10, 0, 1, s0
	v_lshrrev_b32_e32 v13, 2, v13
	v_cmp_lt_i32_e64 s0, 5, v27
	v_cmp_ne_u32_e64 s1, v23, v21
	v_and_or_b32 v5, 0xffe, v24, v10
	v_sub_nc_u32_e32 v10, 0x3f1, v25
	v_add_nc_u32_e32 v24, 0xfffffc10, v26
	v_cndmask_b32_e64 v21, 0, 1, s1
	v_cmp_eq_u32_e64 s1, 3, v27
	v_or_b32_e32 v23, 0x1000, v5
	v_med3_i32 v10, v10, 0, 13
	v_lshl_or_b32 v26, v24, 12, v6
	v_or_b32_e32 v20, v20, v21
	s_or_b32 s0, s1, s0
	v_add_co_ci_u32_e64 v13, s0, 0, v13, s0
	v_lshrrev_b32_e32 v21, v10, v23
	v_cmp_gt_i32_e64 s0, 1, v24
	v_lshlrev_b32_e32 v10, v10, v21
	v_cndmask_b32_e64 v20, v26, v20, s0
	v_cmp_ne_u32_e64 s0, 0, v0
	v_cndmask_b32_e64 v0, 0, 1, s0
	v_cmp_ne_u32_e64 s0, v10, v23
	v_add_nc_u32_e32 v23, 0xfffffc10, v25
	v_and_b32_e32 v25, 7, v20
	v_lshl_or_b32 v0, v0, 9, 0x7c00
	v_cndmask_b32_e64 v10, 0, 1, s0
	v_cmp_gt_i32_e64 s0, 31, v22
	v_cmp_gt_i32_e64 s2, 1, v23
	v_cmp_eq_u32_e64 s1, 3, v25
	v_or_b32_e32 v10, v21, v10
	v_lshl_or_b32 v21, v23, 12, v5
	v_cndmask_b32_e64 v13, 0x7c00, v13, s0
	v_cmp_lt_i32_e64 s0, 5, v25
	v_cndmask_b32_e64 v10, v21, v10, s2
	v_cmp_eq_u32_e64 s2, 0x40f, v22
	s_or_b32 s0, s1, s0
	v_cndmask_b32_e64 v0, v13, v0, s2
	v_lshrrev_b32_e32 v13, 2, v20
	v_and_b32_e32 v20, 7, v10
	v_lshrrev_b32_e32 v10, 2, v10
	v_cmp_gt_i32_e64 s2, 31, v24
	v_and_or_b32 v0, 0x8000, v1, v0
	v_add_co_ci_u32_e64 v13, s0, 0, v13, s0
	v_cmp_ne_u32_e64 s0, 0, v6
	v_cmp_eq_u32_e64 s1, 3, v20
	v_and_b32_e32 v1, 0xffff, v4
	v_cndmask_b32_e64 v13, 0x7c00, v13, s2
	v_cndmask_b32_e64 v6, 0, 1, s0
	v_cmp_lt_i32_e64 s0, 5, v20
	v_lshl_or_b32 v6, v6, 9, 0x7c00
	s_or_b32 s0, s1, s0
	v_add_co_ci_u32_e64 v10, s0, 0, v10, s0
	v_cmp_ne_u32_e64 s0, 0, v5
	v_cndmask_b32_e64 v5, 0, 1, s0
	v_cmp_eq_u32_e64 s0, 0x40f, v24
	v_lshl_or_b32 v5, v5, 9, 0x7c00
	v_cndmask_b32_e64 v6, v13, v6, s0
	v_cmp_gt_i32_e64 s0, 31, v23
	v_and_or_b32 v6, 0x8000, v7, v6
	v_cndmask_b32_e64 v10, 0x7c00, v10, s0
	v_cmp_eq_u32_e64 s0, 0x40f, v23
	v_cndmask_b32_e64 v7, v10, v5, s0
	v_lshrrev_b32_e32 v10, 16, v11
	v_add_co_u32 v4, s0, v2, s10
	v_add_co_ci_u32_e64 v5, s0, s11, v3, s0
	v_lshl_or_b32 v11, v0, 16, v1
	v_and_or_b32 v0, 0x8000, v10, v7
	v_and_b32_e32 v1, 0xffff, v6
	v_add_co_u32 v6, s0, v4, s8
	v_add_co_ci_u32_e64 v7, s0, s9, v5, s0
	v_lshl_or_b32 v10, v0, 16, v1
	v_add_co_u32 v0, s0, v6, s10
	v_add_co_ci_u32_e64 v1, s0, s11, v7, s0
	global_store_dword v[8:9], v14, off
	global_store_dword v[2:3], v15, off
	global_store_dword v[4:5], v12, off
	global_store_dword v[6:7], v11, off
	global_store_dword v[0:1], v10, off
	s_and_b32 exec_lo, exec_lo, vcc_lo
	s_cbranch_execz .LBB0_31
; %bb.30:
	s_clause 0x1
	global_load_dword v2, v[16:17], off offset:1760
	global_load_dword v4, v[18:19], off offset:1692
	ds_read_b32 v3, v43 offset:1760
	ds_read_b32 v5, v43 offset:3740
	s_waitcnt lgkmcnt(1)
	v_lshrrev_b32_e32 v6, 16, v3
	s_waitcnt lgkmcnt(0)
	v_lshrrev_b32_e32 v8, 16, v5
	s_waitcnt vmcnt(1)
	v_mul_f16_sdwa v7, v6, v2 dst_sel:DWORD dst_unused:UNUSED_PAD src0_sel:DWORD src1_sel:WORD_1
	v_mul_f16_sdwa v9, v3, v2 dst_sel:DWORD dst_unused:UNUSED_PAD src0_sel:DWORD src1_sel:WORD_1
	s_waitcnt vmcnt(0)
	v_mul_f16_sdwa v10, v8, v4 dst_sel:DWORD dst_unused:UNUSED_PAD src0_sel:DWORD src1_sel:WORD_1
	v_fmac_f16_e32 v7, v3, v2
	v_fma_f16 v2, v2, v6, -v9
	v_mul_f16_sdwa v6, v5, v4 dst_sel:DWORD dst_unused:UNUSED_PAD src0_sel:DWORD src1_sel:WORD_1
	v_fmac_f16_e32 v10, v5, v4
	v_cvt_f32_f16_e32 v3, v7
	v_cvt_f32_f16_e32 v5, v2
	v_fma_f16 v6, v4, v8, -v6
	v_cvt_f32_f16_e32 v7, v10
	v_cvt_f64_f32_e32 v[2:3], v3
	v_cvt_f64_f32_e32 v[4:5], v5
	v_cvt_f32_f16_e32 v8, v6
	v_cvt_f64_f32_e32 v[6:7], v7
	v_cvt_f64_f32_e32 v[8:9], v8
	v_mul_f64 v[2:3], v[2:3], s[12:13]
	v_mul_f64 v[4:5], v[4:5], s[12:13]
	;; [unrolled: 1-line block ×4, first 2 shown]
	v_and_or_b32 v2, 0x1ff, v3, v2
	v_and_or_b32 v4, 0x1ff, v5, v4
	v_lshrrev_b32_e32 v10, 8, v3
	v_and_or_b32 v6, 0x1ff, v7, v6
	v_bfe_u32 v11, v3, 20, 11
	v_cmp_ne_u32_e32 vcc_lo, 0, v2
	v_lshrrev_b32_e32 v12, 8, v5
	v_and_or_b32 v8, 0x1ff, v9, v8
	v_bfe_u32 v13, v5, 20, 11
	v_lshrrev_b32_e32 v14, 8, v7
	v_cndmask_b32_e64 v2, 0, 1, vcc_lo
	v_cmp_ne_u32_e32 vcc_lo, 0, v4
	v_bfe_u32 v15, v7, 20, 11
	v_bfe_u32 v17, v9, 20, 11
	v_sub_nc_u32_e32 v18, 0x3f1, v11
	v_and_or_b32 v2, 0xffe, v10, v2
	v_cndmask_b32_e64 v4, 0, 1, vcc_lo
	v_cmp_ne_u32_e32 vcc_lo, 0, v6
	v_add_nc_u32_e32 v11, 0xfffffc10, v11
	v_sub_nc_u32_e32 v19, 0x3f1, v13
	v_lshrrev_b32_e32 v16, 8, v9
	v_and_or_b32 v4, 0xffe, v12, v4
	v_cndmask_b32_e64 v6, 0, 1, vcc_lo
	v_cmp_ne_u32_e32 vcc_lo, 0, v8
	v_add_nc_u32_e32 v13, 0xfffffc10, v13
	v_sub_nc_u32_e32 v20, 0x3f1, v15
	v_sub_nc_u32_e32 v21, 0x3f1, v17
	v_med3_i32 v10, v18, 0, 13
	v_cndmask_b32_e64 v8, 0, 1, vcc_lo
	v_cmp_ne_u32_e32 vcc_lo, 0, v2
	v_med3_i32 v12, v19, 0, 13
	v_and_or_b32 v6, 0xffe, v14, v6
	v_or_b32_e32 v18, 0x1000, v2
	v_lshl_or_b32 v19, v11, 12, v2
	v_cndmask_b32_e64 v2, 0, 1, vcc_lo
	v_cmp_ne_u32_e32 vcc_lo, 0, v4
	v_add_nc_u32_e32 v15, 0xfffffc10, v15
	v_med3_i32 v14, v20, 0, 13
	v_and_or_b32 v8, 0xffe, v16, v8
	v_med3_i32 v16, v21, 0, 13
	v_or_b32_e32 v20, 0x1000, v4
	v_lshl_or_b32 v21, v13, 12, v4
	v_cndmask_b32_e64 v4, 0, 1, vcc_lo
	v_cmp_ne_u32_e32 vcc_lo, 0, v6
	v_lshrrev_b32_e32 v26, v10, v18
	v_add_nc_u32_e32 v17, 0xfffffc10, v17
	v_or_b32_e32 v22, 0x1000, v6
	v_lshl_or_b32 v23, v15, 12, v6
	v_cndmask_b32_e64 v6, 0, 1, vcc_lo
	v_cmp_ne_u32_e32 vcc_lo, 0, v8
	v_lshrrev_b32_e32 v27, v12, v20
	v_lshlrev_b32_e32 v10, v10, v26
	v_or_b32_e32 v24, 0x1000, v8
	v_lshl_or_b32 v25, v17, 12, v8
	v_cndmask_b32_e64 v8, 0, 1, vcc_lo
	v_lshrrev_b32_e32 v28, v14, v22
	v_lshlrev_b32_e32 v12, v12, v27
	v_cmp_ne_u32_e32 vcc_lo, v10, v18
	v_lshrrev_b32_e32 v29, v16, v24
	v_lshl_or_b32 v2, v2, 9, 0x7c00
	v_lshlrev_b32_e32 v14, v14, v28
	v_lshl_or_b32 v6, v6, 9, 0x7c00
	v_cndmask_b32_e64 v10, 0, 1, vcc_lo
	v_cmp_ne_u32_e32 vcc_lo, v12, v20
	v_lshlrev_b32_e32 v16, v16, v29
	v_lshl_or_b32 v4, v4, 9, 0x7c00
	v_lshrrev_b32_e32 v3, 16, v3
	v_or_b32_e32 v10, v26, v10
	v_cndmask_b32_e64 v12, 0, 1, vcc_lo
	v_cmp_ne_u32_e32 vcc_lo, v14, v22
	v_lshrrev_b32_e32 v7, 16, v7
	v_lshl_or_b32 v8, v8, 9, 0x7c00
	v_lshrrev_b32_e32 v5, 16, v5
	v_or_b32_e32 v12, v27, v12
	v_cndmask_b32_e64 v14, 0, 1, vcc_lo
	v_cmp_ne_u32_e32 vcc_lo, v16, v24
	v_lshrrev_b32_e32 v9, 16, v9
	v_or_b32_e32 v14, v28, v14
	v_cndmask_b32_e64 v16, 0, 1, vcc_lo
	v_cmp_gt_i32_e32 vcc_lo, 1, v11
	v_or_b32_e32 v16, v29, v16
	v_cndmask_b32_e32 v10, v19, v10, vcc_lo
	v_cmp_gt_i32_e32 vcc_lo, 1, v13
	v_and_b32_e32 v18, 7, v10
	v_cndmask_b32_e32 v12, v21, v12, vcc_lo
	v_cmp_gt_i32_e32 vcc_lo, 1, v15
	v_lshrrev_b32_e32 v10, 2, v10
	v_cmp_eq_u32_e64 s0, 3, v18
	v_and_b32_e32 v19, 7, v12
	v_cndmask_b32_e32 v14, v23, v14, vcc_lo
	v_cmp_gt_i32_e32 vcc_lo, 1, v17
	v_lshrrev_b32_e32 v12, 2, v12
	v_cmp_lt_i32_e64 s1, 5, v19
	v_and_b32_e32 v20, 7, v14
	v_cndmask_b32_e32 v16, v25, v16, vcc_lo
	v_cmp_lt_i32_e32 vcc_lo, 5, v18
	v_cmp_eq_u32_e64 s2, 3, v19
	v_lshrrev_b32_e32 v14, 2, v14
	v_cmp_lt_i32_e64 s3, 5, v20
	v_and_b32_e32 v21, 7, v16
	s_or_b32 vcc_lo, s0, vcc_lo
	v_cmp_eq_u32_e64 s4, 3, v20
	v_add_co_ci_u32_e32 v10, vcc_lo, 0, v10, vcc_lo
	s_or_b32 vcc_lo, s2, s1
	v_cmp_lt_i32_e64 s5, 5, v21
	v_cmp_eq_u32_e64 s6, 3, v21
	v_add_co_ci_u32_e32 v12, vcc_lo, 0, v12, vcc_lo
	v_lshrrev_b32_e32 v16, 2, v16
	s_or_b32 vcc_lo, s4, s3
	v_add_co_ci_u32_e32 v14, vcc_lo, 0, v14, vcc_lo
	s_or_b32 vcc_lo, s6, s5
	v_add_co_ci_u32_e32 v16, vcc_lo, 0, v16, vcc_lo
	v_cmp_gt_i32_e32 vcc_lo, 31, v11
	v_cndmask_b32_e32 v10, 0x7c00, v10, vcc_lo
	v_cmp_gt_i32_e32 vcc_lo, 31, v13
	v_cndmask_b32_e32 v12, 0x7c00, v12, vcc_lo
	;; [unrolled: 2-line block ×4, first 2 shown]
	v_cmp_eq_u32_e32 vcc_lo, 0x40f, v11
	v_cndmask_b32_e32 v2, v10, v2, vcc_lo
	v_cmp_eq_u32_e32 vcc_lo, 0x40f, v15
	v_and_or_b32 v2, 0x8000, v3, v2
	v_cndmask_b32_e32 v6, v14, v6, vcc_lo
	v_cmp_eq_u32_e32 vcc_lo, 0x40f, v13
	v_and_or_b32 v3, 0x8000, v7, v6
	v_cndmask_b32_e32 v4, v12, v4, vcc_lo
	v_cmp_eq_u32_e32 vcc_lo, 0x40f, v17
	v_and_b32_e32 v6, 0xffff, v2
	v_and_b32_e32 v7, 0xffff, v3
	v_and_or_b32 v4, 0x8000, v5, v4
	v_cndmask_b32_e32 v8, v16, v8, vcc_lo
	v_add_co_u32 v0, vcc_lo, v0, s8
	v_add_co_ci_u32_e32 v1, vcc_lo, s9, v1, vcc_lo
	v_and_or_b32 v5, 0x8000, v9, v8
	v_add_co_u32 v2, vcc_lo, v0, s10
	v_lshl_or_b32 v4, v4, 16, v6
	v_add_co_ci_u32_e32 v3, vcc_lo, s11, v1, vcc_lo
	v_lshl_or_b32 v5, v5, 16, v7
	global_store_dword v[0:1], v4, off
	global_store_dword v[2:3], v5, off
.LBB0_31:
	s_endpgm
	.section	.rodata,"a",@progbits
	.p2align	6, 0x0
	.amdhsa_kernel bluestein_single_back_len990_dim1_half_op_CI_CI
		.amdhsa_group_segment_fixed_size 3960
		.amdhsa_private_segment_fixed_size 0
		.amdhsa_kernarg_size 104
		.amdhsa_user_sgpr_count 6
		.amdhsa_user_sgpr_private_segment_buffer 1
		.amdhsa_user_sgpr_dispatch_ptr 0
		.amdhsa_user_sgpr_queue_ptr 0
		.amdhsa_user_sgpr_kernarg_segment_ptr 1
		.amdhsa_user_sgpr_dispatch_id 0
		.amdhsa_user_sgpr_flat_scratch_init 0
		.amdhsa_user_sgpr_private_segment_size 0
		.amdhsa_wavefront_size32 1
		.amdhsa_uses_dynamic_stack 0
		.amdhsa_system_sgpr_private_segment_wavefront_offset 0
		.amdhsa_system_sgpr_workgroup_id_x 1
		.amdhsa_system_sgpr_workgroup_id_y 0
		.amdhsa_system_sgpr_workgroup_id_z 0
		.amdhsa_system_sgpr_workgroup_info 0
		.amdhsa_system_vgpr_workitem_id 0
		.amdhsa_next_free_vgpr 179
		.amdhsa_next_free_sgpr 16
		.amdhsa_reserve_vcc 1
		.amdhsa_reserve_flat_scratch 0
		.amdhsa_float_round_mode_32 0
		.amdhsa_float_round_mode_16_64 0
		.amdhsa_float_denorm_mode_32 3
		.amdhsa_float_denorm_mode_16_64 3
		.amdhsa_dx10_clamp 1
		.amdhsa_ieee_mode 1
		.amdhsa_fp16_overflow 0
		.amdhsa_workgroup_processor_mode 1
		.amdhsa_memory_ordered 1
		.amdhsa_forward_progress 0
		.amdhsa_shared_vgpr_count 0
		.amdhsa_exception_fp_ieee_invalid_op 0
		.amdhsa_exception_fp_denorm_src 0
		.amdhsa_exception_fp_ieee_div_zero 0
		.amdhsa_exception_fp_ieee_overflow 0
		.amdhsa_exception_fp_ieee_underflow 0
		.amdhsa_exception_fp_ieee_inexact 0
		.amdhsa_exception_int_div_zero 0
	.end_amdhsa_kernel
	.text
.Lfunc_end0:
	.size	bluestein_single_back_len990_dim1_half_op_CI_CI, .Lfunc_end0-bluestein_single_back_len990_dim1_half_op_CI_CI
                                        ; -- End function
	.section	.AMDGPU.csdata,"",@progbits
; Kernel info:
; codeLenInByte = 19608
; NumSgprs: 18
; NumVgprs: 179
; ScratchSize: 0
; MemoryBound: 0
; FloatMode: 240
; IeeeMode: 1
; LDSByteSize: 3960 bytes/workgroup (compile time only)
; SGPRBlocks: 2
; VGPRBlocks: 22
; NumSGPRsForWavesPerEU: 18
; NumVGPRsForWavesPerEU: 179
; Occupancy: 5
; WaveLimiterHint : 1
; COMPUTE_PGM_RSRC2:SCRATCH_EN: 0
; COMPUTE_PGM_RSRC2:USER_SGPR: 6
; COMPUTE_PGM_RSRC2:TRAP_HANDLER: 0
; COMPUTE_PGM_RSRC2:TGID_X_EN: 1
; COMPUTE_PGM_RSRC2:TGID_Y_EN: 0
; COMPUTE_PGM_RSRC2:TGID_Z_EN: 0
; COMPUTE_PGM_RSRC2:TIDIG_COMP_CNT: 0
	.text
	.p2alignl 6, 3214868480
	.fill 48, 4, 3214868480
	.type	__hip_cuid_933790767c0659d2,@object ; @__hip_cuid_933790767c0659d2
	.section	.bss,"aw",@nobits
	.globl	__hip_cuid_933790767c0659d2
__hip_cuid_933790767c0659d2:
	.byte	0                               ; 0x0
	.size	__hip_cuid_933790767c0659d2, 1

	.ident	"AMD clang version 19.0.0git (https://github.com/RadeonOpenCompute/llvm-project roc-6.4.0 25133 c7fe45cf4b819c5991fe208aaa96edf142730f1d)"
	.section	".note.GNU-stack","",@progbits
	.addrsig
	.addrsig_sym __hip_cuid_933790767c0659d2
	.amdgpu_metadata
---
amdhsa.kernels:
  - .args:
      - .actual_access:  read_only
        .address_space:  global
        .offset:         0
        .size:           8
        .value_kind:     global_buffer
      - .actual_access:  read_only
        .address_space:  global
        .offset:         8
        .size:           8
        .value_kind:     global_buffer
      - .actual_access:  read_only
        .address_space:  global
        .offset:         16
        .size:           8
        .value_kind:     global_buffer
      - .actual_access:  read_only
        .address_space:  global
        .offset:         24
        .size:           8
        .value_kind:     global_buffer
      - .actual_access:  read_only
        .address_space:  global
        .offset:         32
        .size:           8
        .value_kind:     global_buffer
      - .offset:         40
        .size:           8
        .value_kind:     by_value
      - .address_space:  global
        .offset:         48
        .size:           8
        .value_kind:     global_buffer
      - .address_space:  global
        .offset:         56
        .size:           8
        .value_kind:     global_buffer
      - .address_space:  global
        .offset:         64
        .size:           8
        .value_kind:     global_buffer
      - .address_space:  global
        .offset:         72
        .size:           8
        .value_kind:     global_buffer
      - .offset:         80
        .size:           4
        .value_kind:     by_value
      - .address_space:  global
        .offset:         88
        .size:           8
        .value_kind:     global_buffer
      - .address_space:  global
        .offset:         96
        .size:           8
        .value_kind:     global_buffer
    .group_segment_fixed_size: 3960
    .kernarg_segment_align: 8
    .kernarg_segment_size: 104
    .language:       OpenCL C
    .language_version:
      - 2
      - 0
    .max_flat_workgroup_size: 110
    .name:           bluestein_single_back_len990_dim1_half_op_CI_CI
    .private_segment_fixed_size: 0
    .sgpr_count:     18
    .sgpr_spill_count: 0
    .symbol:         bluestein_single_back_len990_dim1_half_op_CI_CI.kd
    .uniform_work_group_size: 1
    .uses_dynamic_stack: false
    .vgpr_count:     179
    .vgpr_spill_count: 0
    .wavefront_size: 32
    .workgroup_processor_mode: 1
amdhsa.target:   amdgcn-amd-amdhsa--gfx1030
amdhsa.version:
  - 1
  - 2
...

	.end_amdgpu_metadata
